;; amdgpu-corpus repo=ROCm/rocFFT kind=compiled arch=gfx1201 opt=O3
	.text
	.amdgcn_target "amdgcn-amd-amdhsa--gfx1201"
	.amdhsa_code_object_version 6
	.protected	bluestein_single_fwd_len936_dim1_sp_op_CI_CI ; -- Begin function bluestein_single_fwd_len936_dim1_sp_op_CI_CI
	.globl	bluestein_single_fwd_len936_dim1_sp_op_CI_CI
	.p2align	8
	.type	bluestein_single_fwd_len936_dim1_sp_op_CI_CI,@function
bluestein_single_fwd_len936_dim1_sp_op_CI_CI: ; @bluestein_single_fwd_len936_dim1_sp_op_CI_CI
; %bb.0:
	s_load_b128 s[12:15], s[0:1], 0x28
	v_mul_u32_u24_e32 v1, 0x349, v0
	s_mov_b32 s2, exec_lo
	s_delay_alu instid0(VALU_DEP_1) | instskip(NEXT) | instid1(VALU_DEP_1)
	v_lshrrev_b32_e32 v1, 16, v1
	v_mad_co_u64_u32 v[88:89], null, ttmp9, 3, v[1:2]
	v_mov_b32_e32 v89, 0
                                        ; kill: def $vgpr2 killed $sgpr0 killed $exec
	s_wait_kmcnt 0x0
	s_delay_alu instid0(VALU_DEP_1)
	v_cmpx_gt_u64_e64 s[12:13], v[88:89]
	s_cbranch_execz .LBB0_10
; %bb.1:
	s_clause 0x1
	s_load_b128 s[4:7], s[0:1], 0x18
	s_load_b128 s[8:11], s[0:1], 0x0
	v_mul_lo_u16 v1, 0x4e, v1
	s_movk_i32 s2, 0xf3d0
	s_mov_b32 s3, -1
                                        ; implicit-def: $vgpr48
	s_delay_alu instid0(VALU_DEP_1) | instskip(NEXT) | instid1(VALU_DEP_1)
	v_sub_nc_u16 v0, v0, v1
	v_and_b32_e32 v119, 0xffff, v0
	s_wait_kmcnt 0x0
	s_load_b128 s[16:19], s[4:5], 0x0
	s_wait_kmcnt 0x0
	v_mad_co_u64_u32 v[2:3], null, s18, v88, 0
	v_mad_co_u64_u32 v[4:5], null, s16, v119, 0
	s_mul_u64 s[4:5], s[16:17], 0xea0
	s_mul_u64 s[2:3], s[16:17], s[2:3]
	s_delay_alu instid0(VALU_DEP_2) | instskip(NEXT) | instid1(VALU_DEP_2)
	v_mov_b32_e32 v1, v3
	v_mov_b32_e32 v3, v5
	s_delay_alu instid0(VALU_DEP_2) | instskip(NEXT) | instid1(VALU_DEP_2)
	v_mad_co_u64_u32 v[5:6], null, s19, v88, v[1:2]
	v_mad_co_u64_u32 v[6:7], null, s17, v119, v[3:4]
	v_lshlrev_b32_e32 v1, 3, v119
	s_clause 0x1
	global_load_b64 v[101:102], v1, s[8:9] offset:3744
	global_load_b64 v[93:94], v1, s[8:9] offset:4368
	v_mov_b32_e32 v3, v5
	v_mov_b32_e32 v5, v6
	s_clause 0x7
	global_load_b64 v[103:104], v1, s[8:9]
	global_load_b64 v[99:100], v1, s[8:9] offset:624
	global_load_b64 v[80:81], v1, s[8:9] offset:1248
	;; [unrolled: 1-line block ×7, first 2 shown]
	v_lshlrev_b64_e32 v[2:3], 3, v[2:3]
	v_lshlrev_b64_e32 v[4:5], 3, v[4:5]
	s_delay_alu instid0(VALU_DEP_2) | instskip(NEXT) | instid1(VALU_DEP_3)
	v_add_co_u32 v2, vcc_lo, s14, v2
	v_add_co_ci_u32_e32 v3, vcc_lo, s15, v3, vcc_lo
	s_delay_alu instid0(VALU_DEP_2) | instskip(SKIP_1) | instid1(VALU_DEP_2)
	v_add_co_u32 v2, vcc_lo, v2, v4
	s_wait_alu 0xfffd
	v_add_co_ci_u32_e32 v3, vcc_lo, v3, v5, vcc_lo
	s_delay_alu instid0(VALU_DEP_2) | instskip(SKIP_1) | instid1(VALU_DEP_2)
	v_add_co_u32 v4, vcc_lo, v2, s4
	s_wait_alu 0xfffd
	v_add_co_ci_u32_e32 v5, vcc_lo, s5, v3, vcc_lo
	global_load_b64 v[10:11], v[2:3], off
	v_add_co_u32 v6, vcc_lo, v4, s2
	s_wait_alu 0xfffd
	v_add_co_ci_u32_e32 v7, vcc_lo, s3, v5, vcc_lo
	s_delay_alu instid0(VALU_DEP_2) | instskip(SKIP_1) | instid1(VALU_DEP_2)
	v_add_co_u32 v8, vcc_lo, v6, s4
	s_wait_alu 0xfffd
	v_add_co_ci_u32_e32 v9, vcc_lo, s5, v7, vcc_lo
	s_delay_alu instid0(VALU_DEP_2)
	v_add_co_u32 v2, vcc_lo, v8, s2
	s_clause 0x2
	global_load_b64 v[12:13], v[4:5], off
	global_load_b64 v[5:6], v[6:7], off
	;; [unrolled: 1-line block ×3, first 2 shown]
	s_wait_alu 0xfffd
	v_add_co_ci_u32_e32 v3, vcc_lo, s3, v9, vcc_lo
	v_add_co_u32 v14, vcc_lo, v2, s4
	s_wait_alu 0xfffd
	s_delay_alu instid0(VALU_DEP_2)
	v_add_co_ci_u32_e32 v15, vcc_lo, s5, v3, vcc_lo
	global_load_b64 v[16:17], v[2:3], off
	v_add_co_u32 v2, vcc_lo, v14, s2
	s_wait_alu 0xfffd
	v_add_co_ci_u32_e32 v3, vcc_lo, s3, v15, vcc_lo
	global_load_b64 v[14:15], v[14:15], off
	v_add_co_u32 v18, vcc_lo, v2, s4
	s_wait_alu 0xfffd
	;; [unrolled: 4-line block ×6, first 2 shown]
	v_add_co_ci_u32_e32 v27, vcc_lo, s5, v3, vcc_lo
	v_cmp_gt_u16_e32 vcc_lo, 0x48, v0
	s_wait_loadcnt 0x9
	v_mul_f32_e32 v9, v11, v104
	v_mul_f32_e32 v31, v10, v104
	s_wait_loadcnt 0x7
	v_dual_mul_f32 v33, v12, v102 :: v_dual_mul_f32 v32, v6, v100
	global_load_b64 v[95:96], v1, s[8:9] offset:3120
	global_load_b64 v[28:29], v[2:3], off
	global_load_b64 v[97:98], v1, s[8:9] offset:6864
	global_load_b64 v[26:27], v[26:27], off
	v_mul_hi_u32 v2, 0xaaaaaaab, v88
	v_dual_mul_f32 v30, v13, v102 :: v_dual_fmac_f32 v9, v10, v103
	v_fma_f32 v10, v11, v103, -v31
	v_fma_f32 v31, v13, v101, -v33
	s_delay_alu instid0(VALU_DEP_3)
	v_dual_fmac_f32 v30, v12, v101 :: v_dual_and_b32 v39, 1, v119
	s_wait_loadcnt 0x9
	v_mul_f32_e32 v11, v17, v81
	v_lshrrev_b32_e32 v2, 1, v2
	v_add_co_u32 v51, s2, 0x4e, v119
	s_wait_alu 0xf1ff
	v_add_co_ci_u32_e64 v52, null, 0, 0, s2
	s_delay_alu instid0(VALU_DEP_3) | instskip(SKIP_3) | instid1(VALU_DEP_3)
	v_lshl_add_u32 v2, v2, 1, v2
	v_add_co_u32 v50, s2, 0x9c, v119
	s_load_b128 s[4:7], s[6:7], 0x0
	v_add_co_u32 v66, null, 0xea, v119
	v_sub_nc_u32_e32 v2, v88, v2
	v_mul_f32_e32 v34, v5, v100
	v_dual_fmac_f32 v32, v5, v99 :: v_dual_mul_f32 v5, v8, v94
	s_wait_loadcnt 0x6
	v_mul_f32_e32 v13, v19, v90
	v_mul_u32_u24_e32 v2, 0x3a8, v2
	v_fma_f32 v33, v6, v99, -v34
	v_mul_f32_e32 v6, v7, v94
	v_fmac_f32_e32 v5, v7, v93
	v_dual_mul_f32 v7, v15, v92 :: v_dual_lshlrev_b32 v42, 3, v39
	v_lshlrev_b32_e32 v121, 3, v2
	s_delay_alu instid0(VALU_DEP_4)
	v_fma_f32 v6, v8, v93, -v6
	v_mul_f32_e32 v8, v16, v81
	v_fmac_f32_e32 v13, v18, v89
	v_add_co_ci_u32_e64 v2, null, 0, 0, s2
	v_add_nc_u32_e32 v120, v1, v121
	v_add_co_u32 v54, s2, 0x138, v119
	s_wait_alu 0xf1ff
	v_add_co_ci_u32_e64 v2, null, 0, 0, s2
	s_delay_alu instid0(VALU_DEP_3)
	v_add_nc_u32_e32 v3, 0x1000, v120
	v_add_nc_u32_e32 v41, 0x1800, v120
	ds_store_b64 v120, v[30:31] offset:3744
	ds_store_2addr_b64 v120, v[9:10], v[32:33] offset1:78
	v_dual_mul_f32 v10, v14, v92 :: v_dual_mul_f32 v9, v21, v85
	v_fmac_f32_e32 v7, v14, v91
	v_dual_mul_f32 v14, v18, v90 :: v_dual_fmac_f32 v11, v16, v80
	v_mul_f32_e32 v16, v20, v85
	v_fma_f32 v12, v17, v80, -v8
	s_wait_loadcnt 0x4
	v_dual_mul_f32 v17, v23, v83 :: v_dual_lshlrev_b32 v0, 1, v50
	v_mul_f32_e32 v18, v22, v83
	v_fma_f32 v8, v15, v91, -v10
	v_fmac_f32_e32 v9, v20, v84
	v_fma_f32 v10, v21, v84, -v16
	v_mul_f32_e32 v15, v25, v87
	v_mul_f32_e32 v16, v24, v87
	v_fma_f32 v14, v19, v89, -v14
	v_dual_fmac_f32 v17, v22, v82 :: v_dual_add_nc_u32 v40, 0xc00, v120
	v_add_nc_u32_e32 v2, 0x1400, v120
	v_add_nc_u32_e32 v4, 0x800, v120
	v_fma_f32 v18, v23, v82, -v18
	v_fmac_f32_e32 v15, v24, v86
	v_fma_f32 v16, v25, v86, -v16
	v_add_co_u32 v55, s2, 0x186, v119
	v_lshl_add_u32 v65, v119, 4, v121
	v_lshl_add_u32 v64, v51, 4, v121
	;; [unrolled: 1-line block ×6, first 2 shown]
	v_and_or_b32 v0, 0x3fc, v0, v39
	s_delay_alu instid0(VALU_DEP_1) | instskip(SKIP_4) | instid1(VALU_DEP_2)
	v_lshl_add_u32 v127, v0, 3, v121
	s_wait_loadcnt 0x2
	v_mul_f32_e32 v19, v29, v96
	s_wait_loadcnt 0x0
	v_dual_mul_f32 v20, v28, v96 :: v_dual_mul_f32 v21, v27, v98
	v_dual_mul_f32 v22, v26, v98 :: v_dual_fmac_f32 v19, v28, v95
	s_delay_alu instid0(VALU_DEP_2) | instskip(NEXT) | instid1(VALU_DEP_3)
	v_fma_f32 v20, v29, v95, -v20
	v_fmac_f32_e32 v21, v26, v97
	s_delay_alu instid0(VALU_DEP_3)
	v_fma_f32 v22, v27, v97, -v22
	ds_store_2addr_b64 v3, v[5:6], v[7:8] offset0:34 offset1:112
	ds_store_2addr_b64 v120, v[11:12], v[9:10] offset0:156 offset1:234
	;; [unrolled: 1-line block ×4, first 2 shown]
	ds_store_b64 v120, v[21:22] offset:6864
	global_wb scope:SCOPE_SE
	s_wait_dscnt 0x0
	s_wait_kmcnt 0x0
	s_barrier_signal -1
	s_barrier_wait -1
	global_inv scope:SCOPE_SE
	ds_load_2addr_b64 v[5:8], v120 offset1:78
	ds_load_2addr_b64 v[9:12], v40 offset0:84 offset1:162
	ds_load_2addr_b64 v[13:16], v120 offset0:156 offset1:234
	ds_load_2addr_b64 v[17:20], v3 offset0:112 offset1:190
	s_wait_alu 0xf1ff
	v_add_co_ci_u32_e64 v21, null, 0, 0, s2
	ds_load_2addr_b64 v[21:24], v4 offset0:56 offset1:134
	ds_load_2addr_b64 v[25:28], v41 offset0:12 offset1:90
	global_wb scope:SCOPE_SE
	s_wait_dscnt 0x0
	s_barrier_signal -1
	s_barrier_wait -1
	global_inv scope:SCOPE_SE
	s_load_b64 s[2:3], s[0:1], 0x38
	v_add_co_u32 v58, s0, s8, v1
	v_lshlrev_b32_e32 v1, 1, v66
	s_wait_alu 0xf1ff
	v_add_co_ci_u32_e64 v59, null, s9, 0, s0
	s_delay_alu instid0(VALU_DEP_2)
	v_and_or_b32 v1, 0x3fc, v1, v39
	v_dual_sub_f32 v29, v5, v9 :: v_dual_sub_f32 v30, v6, v10
	v_dual_sub_f32 v9, v7, v11 :: v_dual_sub_f32 v10, v8, v12
	;; [unrolled: 1-line block ×6, first 2 shown]
	v_fma_f32 v27, v5, 2.0, -v29
	v_fma_f32 v28, v6, 2.0, -v30
	;; [unrolled: 1-line block ×12, first 2 shown]
	ds_store_b128 v65, v[27:30]
	ds_store_b128 v64, v[7:10]
	;; [unrolled: 1-line block ×6, first 2 shown]
	global_wb scope:SCOPE_SE
	s_wait_dscnt 0x0
	s_wait_kmcnt 0x0
	s_barrier_signal -1
	s_barrier_wait -1
	global_inv scope:SCOPE_SE
	global_load_b64 v[56:57], v42, s[10:11]
	ds_load_2addr_b64 v[5:8], v40 offset0:84 offset1:162
	v_lshlrev_b32_e32 v67, 1, v119
	v_lshl_add_u32 v126, v1, 3, v121
	v_lshlrev_b32_e32 v9, 1, v54
	v_lshlrev_b32_e32 v13, 1, v55
	s_delay_alu instid0(VALU_DEP_4) | instskip(NEXT) | instid1(VALU_DEP_3)
	v_and_or_b32 v14, 0xfc, v67, v39
	v_and_or_b32 v17, 0x3fc, v9, v39
	ds_load_2addr_b64 v[9:12], v3 offset0:112 offset1:190
	v_and_or_b32 v18, 0x7fc, v13, v39
	v_lshl_add_u32 v129, v14, 3, v121
	v_lshl_add_u32 v125, v17, 3, v121
	s_delay_alu instid0(VALU_DEP_3)
	v_lshl_add_u32 v124, v18, 3, v121
	s_wait_loadcnt_dscnt 0x1
	v_mul_f32_e32 v0, v6, v57
	v_mul_f32_e32 v21, v8, v57
	;; [unrolled: 1-line block ×4, first 2 shown]
	s_wait_dscnt 0x0
	v_mul_f32_e32 v23, v10, v57
	v_fma_f32 v0, v5, v56, -v0
	v_fma_f32 v5, v7, v56, -v21
	v_dual_mul_f32 v24, v9, v57 :: v_dual_lshlrev_b32 v53, 1, v51
	v_mul_f32_e32 v25, v12, v57
	v_dual_mul_f32 v28, v11, v57 :: v_dual_fmac_f32 v1, v6, v56
	s_delay_alu instid0(VALU_DEP_3)
	v_and_or_b32 v15, 0x1fc, v53, v39
	v_fmac_f32_e32 v22, v8, v56
	v_fma_f32 v6, v9, v56, -v23
	v_fmac_f32_e32 v24, v10, v56
	v_fma_f32 v7, v11, v56, -v25
	v_lshl_add_u32 v128, v15, 3, v121
	ds_load_2addr_b64 v[13:16], v41 offset0:12 offset1:90
	ds_load_2addr_b64 v[17:20], v120 offset1:78
	ds_load_2addr_b64 v[68:71], v120 offset0:156 offset1:234
	ds_load_2addr_b64 v[72:75], v4 offset0:56 offset1:134
	v_fmac_f32_e32 v28, v12, v56
	global_wb scope:SCOPE_SE
	s_wait_dscnt 0x0
	s_barrier_signal -1
	s_barrier_wait -1
	global_inv scope:SCOPE_SE
	v_sub_f32_e32 v30, v19, v5
	v_mul_f32_e32 v26, v14, v57
	v_mul_f32_e32 v29, v13, v57
	;; [unrolled: 1-line block ×3, first 2 shown]
	v_dual_mul_f32 v32, v15, v57 :: v_dual_sub_f32 v31, v20, v22
	s_delay_alu instid0(VALU_DEP_4) | instskip(NEXT) | instid1(VALU_DEP_4)
	v_fma_f32 v8, v13, v56, -v26
	v_fmac_f32_e32 v29, v14, v56
	s_delay_alu instid0(VALU_DEP_4) | instskip(NEXT) | instid1(VALU_DEP_4)
	v_fma_f32 v9, v15, v56, -v27
	v_fmac_f32_e32 v32, v16, v56
	v_dual_sub_f32 v26, v17, v0 :: v_dual_sub_f32 v27, v18, v1
	v_dual_sub_f32 v34, v68, v6 :: v_dual_sub_f32 v35, v69, v24
	;; [unrolled: 1-line block ×5, first 2 shown]
	v_fma_f32 v24, v17, 2.0, -v26
	v_fma_f32 v25, v18, 2.0, -v27
	;; [unrolled: 1-line block ×12, first 2 shown]
	ds_store_2addr_b64 v129, v[24:25], v[26:27] offset1:2
	ds_store_2addr_b64 v128, v[28:29], v[30:31] offset1:2
	;; [unrolled: 1-line block ×6, first 2 shown]
	global_wb scope:SCOPE_SE
	s_wait_dscnt 0x0
	s_barrier_signal -1
	s_barrier_wait -1
	global_inv scope:SCOPE_SE
	s_and_saveexec_b32 s0, vcc_lo
	s_cbranch_execz .LBB0_3
; %bb.2:
	ds_load_2addr_b64 v[24:27], v120 offset1:72
	ds_load_2addr_b64 v[28:31], v120 offset0:144 offset1:216
	ds_load_2addr_b64 v[32:35], v4 offset0:32 offset1:104
	;; [unrolled: 1-line block ×5, first 2 shown]
	ds_load_b64 v[48:49], v120 offset:6912
.LBB0_3:
	s_wait_alu 0xfffe
	s_or_b32 exec_lo, exec_lo, s0
	v_and_b32_e32 v122, 3, v119
	s_delay_alu instid0(VALU_DEP_1) | instskip(NEXT) | instid1(VALU_DEP_1)
	v_mul_u32_u24_e32 v0, 12, v122
	v_lshlrev_b32_e32 v20, 3, v0
	s_clause 0x5
	global_load_b128 v[12:15], v20, s[10:11] offset:16
	global_load_b128 v[8:11], v20, s[10:11] offset:32
	global_load_b128 v[0:3], v20, s[10:11] offset:48
	global_load_b128 v[4:7], v20, s[10:11] offset:64
	global_load_b128 v[16:19], v20, s[10:11] offset:80
	global_load_b128 v[20:23], v20, s[10:11] offset:96
	global_wb scope:SCOPE_SE
	s_wait_loadcnt_dscnt 0x0
	s_barrier_signal -1
	s_barrier_wait -1
	global_inv scope:SCOPE_SE
	v_mul_f32_e32 v107, v26, v13
	v_mul_f32_e32 v75, v27, v13
	v_dual_mul_f32 v79, v29, v15 :: v_dual_mul_f32 v106, v31, v9
	v_dual_mul_f32 v116, v41, v7 :: v_dual_mul_f32 v117, v43, v17
	s_delay_alu instid0(VALU_DEP_4) | instskip(SKIP_4) | instid1(VALU_DEP_4)
	v_dual_mul_f32 v130, v49, v23 :: v_dual_fmac_f32 v107, v27, v12
	v_dual_mul_f32 v105, v28, v15 :: v_dual_mul_f32 v78, v30, v9
	v_dual_mul_f32 v108, v33, v11 :: v_dual_mul_f32 v109, v35, v1
	;; [unrolled: 1-line block ×4, first 2 shown]
	v_dual_mul_f32 v68, v48, v23 :: v_dual_fmac_f32 v105, v29, v14
	v_fma_f32 v113, v26, v12, -v75
	v_fma_f32 v75, v42, v16, -v117
	;; [unrolled: 1-line block ×3, first 2 shown]
	v_dual_mul_f32 v118, v45, v19 :: v_dual_mul_f32 v123, v47, v21
	v_dual_mul_f32 v70, v44, v19 :: v_dual_mul_f32 v69, v46, v21
	v_fma_f32 v112, v28, v14, -v79
	v_fma_f32 v109, v34, v0, -v109
	v_dual_fmac_f32 v76, v35, v0 :: v_dual_sub_f32 v145, v113, v42
	v_fma_f32 v79, v40, v6, -v116
	v_dual_fmac_f32 v68, v49, v22 :: v_dual_fmac_f32 v69, v47, v20
	v_dual_mul_f32 v74, v36, v3 :: v_dual_mul_f32 v73, v38, v5
	v_dual_fmac_f32 v72, v41, v6 :: v_dual_fmac_f32 v71, v43, v16
	s_delay_alu instid0(VALU_DEP_3)
	v_dual_fmac_f32 v70, v45, v18 :: v_dual_add_f32 v41, v107, v68
	v_fma_f32 v43, v46, v20, -v123
	v_dual_sub_f32 v134, v107, v68 :: v_dual_sub_f32 v135, v105, v69
	v_dual_sub_f32 v142, v109, v79 :: v_dual_mul_f32 v133, 0xbeedf032, v145
	v_fma_f32 v111, v30, v8, -v106
	v_dual_fmac_f32 v78, v31, v8 :: v_dual_fmac_f32 v77, v33, v10
	v_dual_fmac_f32 v74, v37, v2 :: v_dual_fmac_f32 v73, v39, v4
	v_fma_f32 v44, v44, v18, -v118
	v_dual_add_f32 v30, v113, v42 :: v_dual_add_f32 v31, v112, v43
	v_sub_f32_e32 v136, v112, v43
	v_fma_f32 v27, 0x3f62ad3f, v41, -v133
	v_mul_f32_e32 v132, 0xbeedf032, v134
	v_dual_mul_f32 v114, v37, v3 :: v_dual_mul_f32 v115, v39, v5
	v_fma_f32 v110, v32, v10, -v108
	v_dual_add_f32 v34, v105, v69 :: v_dual_sub_f32 v137, v78, v70
	v_dual_sub_f32 v138, v111, v44 :: v_dual_add_f32 v33, v109, v79
	v_add_f32_e32 v39, v74, v73
	v_dual_add_f32 v27, v25, v27 :: v_dual_fmamk_f32 v26, v30, 0x3f62ad3f, v132
	v_mul_f32_e32 v131, 0xbf52af12, v136
	v_fma_f32 v108, v36, v2, -v114
	v_fma_f32 v106, v38, v4, -v115
	v_dual_add_f32 v38, v78, v70 :: v_dual_sub_f32 v139, v77, v71
	v_dual_sub_f32 v140, v110, v75 :: v_dual_mul_f32 v49, 0xbf7e222b, v137
	v_mul_f32_e32 v116, 0xbf7e222b, v138
	v_add_f32_e32 v26, v24, v26
	v_fma_f32 v29, 0x3f116cb1, v34, -v131
	v_dual_add_f32 v40, v77, v71 :: v_dual_sub_f32 v141, v76, v72
	v_add_f32_e32 v37, v108, v106
	v_dual_sub_f32 v144, v108, v106 :: v_dual_mul_f32 v115, 0xbf52af12, v135
	s_delay_alu instid0(VALU_DEP_4) | instskip(SKIP_3) | instid1(VALU_DEP_3)
	v_dual_mul_f32 v48, 0xbf6f5d39, v140 :: v_dual_add_f32 v27, v29, v27
	v_fma_f32 v118, 0x3df6dbef, v38, -v116
	v_dual_add_f32 v36, v76, v72 :: v_dual_sub_f32 v143, v74, v73
	v_dual_mul_f32 v45, 0xbf29c268, v141 :: v_dual_mul_f32 v114, 0xbf29c268, v142
	v_dual_fmamk_f32 v28, v31, 0x3f116cb1, v115 :: v_dual_add_f32 v27, v118, v27
	v_fma_f32 v29, 0xbeb58ec6, v40, -v48
	v_dual_add_f32 v32, v111, v44 :: v_dual_add_f32 v35, v110, v75
	v_mul_f32_e32 v46, 0xbf6f5d39, v139
	v_mul_f32_e32 v130, 0xbe750f2a, v144
	v_fma_f32 v118, 0xbf3f9e67, v36, -v114
	v_dual_add_f32 v27, v29, v27 :: v_dual_add_f32 v26, v28, v26
	v_mul_f32_e32 v47, 0xbe750f2a, v143
	v_fmamk_f32 v28, v35, 0xbeb58ec6, v46
	v_fma_f32 v29, 0xbf788fa5, v39, -v130
	s_delay_alu instid0(VALU_DEP_4) | instskip(SKIP_2) | instid1(VALU_DEP_3)
	v_add_f32_e32 v27, v118, v27
	v_fmamk_f32 v117, v32, 0x3df6dbef, v49
	v_lshrrev_b32_e32 v123, 2, v119
	v_add_f32_e32 v118, v29, v27
	s_delay_alu instid0(VALU_DEP_3) | instskip(NEXT) | instid1(VALU_DEP_1)
	v_add_f32_e32 v26, v117, v26
	v_dual_fmamk_f32 v117, v33, 0xbf3f9e67, v45 :: v_dual_add_f32 v26, v28, v26
	v_fmamk_f32 v28, v37, 0xbf788fa5, v47
	s_delay_alu instid0(VALU_DEP_2) | instskip(NEXT) | instid1(VALU_DEP_1)
	v_add_f32_e32 v26, v117, v26
	v_add_f32_e32 v117, v28, v26
	s_and_saveexec_b32 s0, vcc_lo
	s_cbranch_execz .LBB0_5
; %bb.4:
	v_dual_mul_f32 v150, 0x3df6dbef, v41 :: v_dual_mul_f32 v157, 0x3df6dbef, v38
	v_mul_f32_e32 v148, 0x3df6dbef, v34
	v_mul_f32_e32 v164, 0xbf7e222b, v134
	v_dual_mul_f32 v151, 0xbf788fa5, v34 :: v_dual_mul_f32 v166, 0xbf788fa5, v39
	s_delay_alu instid0(VALU_DEP_4) | instskip(SKIP_2) | instid1(VALU_DEP_3)
	v_dual_fmamk_f32 v26, v145, 0x3f7e222b, v150 :: v_dual_mul_f32 v177, 0x3f7e222b, v135
	v_mul_f32_e32 v167, 0xbe750f2a, v135
	v_fmamk_f32 v147, v136, 0xbf7e222b, v148
	v_dual_fmamk_f32 v27, v136, 0x3e750f2a, v151 :: v_dual_add_f32 v26, v25, v26
	s_delay_alu instid0(VALU_DEP_4) | instskip(SKIP_4) | instid1(VALU_DEP_4)
	v_fmamk_f32 v178, v31, 0x3df6dbef, v177
	v_mul_f32_e32 v149, 0x3f116cb1, v38
	v_fmamk_f32 v29, v31, 0xbf788fa5, v167
	v_mul_f32_e32 v169, 0x3f6f5d39, v137
	v_dual_mul_f32 v163, 0xbf788fa5, v37 :: v_dual_add_f32 v26, v27, v26
	v_fmamk_f32 v175, v138, 0x3f52af12, v149
	v_fmamk_f32 v28, v30, 0x3df6dbef, v164
	v_mul_f32_e32 v161, 0xbeb58ec6, v38
	v_dual_mul_f32 v183, 0x3eedf032, v141 :: v_dual_mul_f32 v184, 0x3eedf032, v136
	v_mul_f32_e32 v170, 0xbf3f9e67, v39
	s_delay_alu instid0(VALU_DEP_3) | instskip(SKIP_1) | instid1(VALU_DEP_4)
	v_dual_add_f32 v28, v24, v28 :: v_dual_fmamk_f32 v27, v138, 0xbf6f5d39, v161
	v_mul_f32_e32 v180, 0xbeb58ec6, v39
	v_fmamk_f32 v186, v34, 0x3f62ad3f, v184
	v_mul_f32_e32 v172, 0xbf52af12, v141
	s_delay_alu instid0(VALU_DEP_4) | instskip(SKIP_4) | instid1(VALU_DEP_3)
	v_add_f32_e32 v28, v29, v28
	v_dual_mul_f32 v165, 0x3f62ad3f, v40 :: v_dual_add_f32 v26, v27, v26
	v_fmamk_f32 v29, v32, 0xbeb58ec6, v169
	v_mul_f32_e32 v168, 0x3f116cb1, v36
	v_dual_mul_f32 v173, 0xbf29c268, v143 :: v_dual_mul_f32 v174, 0xbf29c268, v134
	v_dual_fmamk_f32 v27, v140, 0xbeedf032, v165 :: v_dual_add_f32 v28, v29, v28
	v_mul_f32_e32 v171, 0x3eedf032, v139
	v_mul_f32_e32 v160, 0xbf3f9e67, v33
	;; [unrolled: 1-line block ×3, first 2 shown]
	s_delay_alu instid0(VALU_DEP_4)
	v_add_f32_e32 v26, v27, v26
	v_mul_f32_e32 v188, 0xbe750f2a, v134
	v_fmamk_f32 v29, v35, 0x3f62ad3f, v171
	v_mul_f32_e32 v182, 0xbe750f2a, v145
	v_mul_f32_e32 v176, 0xbf788fa5, v40
	;; [unrolled: 1-line block ×3, first 2 shown]
	s_delay_alu instid0(VALU_DEP_4) | instskip(SKIP_2) | instid1(VALU_DEP_4)
	v_dual_mul_f32 v193, 0xbf29c268, v137 :: v_dual_add_f32 v28, v29, v28
	v_fmamk_f32 v29, v33, 0x3f116cb1, v172
	v_fmamk_f32 v27, v142, 0x3f52af12, v168
	v_fma_f32 v192, 0x3f62ad3f, v31, -v190
	v_fmac_f32_e32 v150, 0xbf7e222b, v145
	v_fmac_f32_e32 v151, 0xbe750f2a, v136
	v_add_f32_e32 v28, v29, v28
	v_dual_add_f32 v26, v27, v26 :: v_dual_fmamk_f32 v29, v37, 0xbf3f9e67, v173
	v_fmamk_f32 v27, v144, 0x3f29c268, v170
	v_mul_f32_e32 v156, 0x3df6dbef, v32
	v_add_f32_e32 v150, v25, v150
	v_mul_f32_e32 v191, 0xbf6f5d39, v142
	v_fma_f32 v164, 0x3df6dbef, v30, -v164
	v_dual_add_f32 v27, v27, v26 :: v_dual_fmamk_f32 v26, v145, 0x3f29c268, v146
	s_delay_alu instid0(VALU_DEP_4) | instskip(NEXT) | instid1(VALU_DEP_3)
	v_add_f32_e32 v150, v151, v150
	v_dual_fmac_f32 v161, 0x3f6f5d39, v138 :: v_dual_add_f32 v164, v24, v164
	v_dual_mul_f32 v154, 0x3f116cb1, v31 :: v_dual_mul_f32 v155, 0x3f116cb1, v34
	s_delay_alu instid0(VALU_DEP_4) | instskip(SKIP_2) | instid1(VALU_DEP_4)
	v_add_f32_e32 v26, v25, v26
	v_mul_f32_e32 v162, 0xbf3f9e67, v36
	v_dual_mul_f32 v198, 0x3eedf032, v137 :: v_dual_fmac_f32 v165, 0x3eedf032, v140
	v_dual_mul_f32 v200, 0x3e750f2a, v141 :: v_dual_add_f32 v131, v131, v155
	s_delay_alu instid0(VALU_DEP_4) | instskip(SKIP_4) | instid1(VALU_DEP_4)
	v_dual_add_f32 v147, v147, v26 :: v_dual_add_f32 v26, v29, v28
	v_fmamk_f32 v28, v30, 0xbf3f9e67, v174
	v_fma_f32 v174, 0xbf3f9e67, v30, -v174
	v_dual_mul_f32 v195, 0x3f52af12, v139 :: v_dual_add_f32 v150, v161, v150
	v_fma_f32 v151, 0xbf788fa5, v33, -v200
	v_add_f32_e32 v28, v24, v28
	s_delay_alu instid0(VALU_DEP_4)
	v_add_f32_e32 v174, v24, v174
	v_fmac_f32_e32 v168, 0xbf52af12, v142
	v_fma_f32 v177, 0x3df6dbef, v31, -v177
	v_dual_mul_f32 v152, 0x3f62ad3f, v30 :: v_dual_mul_f32 v153, 0x3f62ad3f, v41
	v_dual_add_f32 v28, v178, v28 :: v_dual_mul_f32 v179, 0xbf52af12, v137
	v_mul_f32_e32 v137, 0xbe750f2a, v137
	v_dual_mul_f32 v194, 0x3f7e222b, v144 :: v_dual_add_f32 v165, v165, v150
	s_delay_alu instid0(VALU_DEP_4) | instskip(NEXT) | instid1(VALU_DEP_4)
	v_dual_mul_f32 v196, 0x3e750f2a, v142 :: v_dual_add_f32 v153, v133, v153
	v_fmamk_f32 v178, v32, 0x3f116cb1, v179
	v_fma_f32 v167, 0xbf788fa5, v31, -v167
	v_sub_f32_e32 v132, v152, v132
	v_dual_mul_f32 v158, 0xbeb58ec6, v35 :: v_dual_mul_f32 v159, 0xbeb58ec6, v40
	s_delay_alu instid0(VALU_DEP_4) | instskip(NEXT) | instid1(VALU_DEP_3)
	v_dual_add_f32 v28, v178, v28 :: v_dual_mul_f32 v181, 0x3e750f2a, v139
	v_add_f32_e32 v132, v24, v132
	v_fmac_f32_e32 v200, 0xbf788fa5, v33
	s_delay_alu instid0(VALU_DEP_4) | instskip(NEXT) | instid1(VALU_DEP_4)
	v_add_f32_e32 v48, v48, v159
	v_dual_add_f32 v107, v25, v107 :: v_dual_fmamk_f32 v178, v35, 0xbf788fa5, v181
	v_sub_f32_e32 v49, v156, v49
	v_sub_f32_e32 v45, v160, v45
	;; [unrolled: 1-line block ×3, first 2 shown]
	s_delay_alu instid0(VALU_DEP_4)
	v_dual_add_f32 v105, v107, v105 :: v_dual_add_f32 v28, v178, v28
	v_fmamk_f32 v178, v33, 0x3f62ad3f, v183
	v_mul_f32_e32 v185, 0xbf6f5d39, v143
	v_add_f32_e32 v107, v24, v113
	v_add_f32_e32 v113, v25, v153
	;; [unrolled: 1-line block ×4, first 2 shown]
	v_fmamk_f32 v178, v37, 0xbeb58ec6, v185
	v_mul_f32_e32 v187, 0xbf29c268, v138
	v_add_f32_e32 v105, v107, v112
	v_dual_sub_f32 v107, v154, v115 :: v_dual_add_f32 v112, v131, v113
	s_delay_alu instid0(VALU_DEP_4) | instskip(SKIP_2) | instid1(VALU_DEP_2)
	v_add_f32_e32 v28, v178, v28
	v_fma_f32 v178, 0xbf788fa5, v30, -v188
	v_add_f32_e32 v113, v116, v157
	v_dual_add_f32 v77, v78, v77 :: v_dual_add_f32 v178, v24, v178
	v_add_f32_e32 v29, v175, v147
	v_fmamk_f32 v147, v140, 0xbe750f2a, v176
	v_mul_f32_e32 v175, 0x3f62ad3f, v36
	s_delay_alu instid0(VALU_DEP_4)
	v_add_f32_e32 v76, v77, v76
	v_add_f32_e32 v178, v192, v178
	v_fma_f32 v192, 0xbf3f9e67, v32, -v193
	v_add_f32_e32 v29, v147, v29
	v_fmamk_f32 v147, v142, 0xbeedf032, v175
	v_fmac_f32_e32 v175, 0x3eedf032, v142
	v_fmac_f32_e32 v149, 0xbf52af12, v138
	v_add_f32_e32 v178, v192, v178
	v_fma_f32 v192, 0x3f116cb1, v35, -v195
	v_add_f32_e32 v29, v147, v29
	v_fmamk_f32 v147, v144, 0x3f6f5d39, v180
	v_mul_f32_e32 v189, 0x3f52af12, v140
	v_fmac_f32_e32 v170, 0xbf29c268, v144
	v_add_f32_e32 v178, v192, v178
	s_delay_alu instid0(VALU_DEP_4) | instskip(SKIP_4) | instid1(VALU_DEP_4)
	v_dual_mul_f32 v192, 0x3f7e222b, v143 :: v_dual_add_f32 v29, v147, v29
	v_fmamk_f32 v147, v41, 0xbf788fa5, v182
	v_fmac_f32_e32 v148, 0x3f7e222b, v136
	v_fmac_f32_e32 v176, 0x3e750f2a, v140
	;; [unrolled: 1-line block ×3, first 2 shown]
	v_dual_mul_f32 v142, 0x3f7e222b, v142 :: v_dual_add_f32 v147, v25, v147
	v_fmac_f32_e32 v146, 0xbf29c268, v145
	v_dual_add_f32 v74, v76, v74 :: v_dual_fmac_f32 v195, 0x3f116cb1, v35
	s_delay_alu instid0(VALU_DEP_3) | instskip(SKIP_1) | instid1(VALU_DEP_1)
	v_add_f32_e32 v147, v186, v147
	v_fmamk_f32 v186, v38, 0xbf3f9e67, v187
	v_dual_add_f32 v146, v25, v146 :: v_dual_add_f32 v147, v186, v147
	v_fmamk_f32 v186, v40, 0x3f116cb1, v189
	s_delay_alu instid0(VALU_DEP_2) | instskip(SKIP_1) | instid1(VALU_DEP_3)
	v_add_f32_e32 v146, v148, v146
	v_dual_sub_f32 v46, v158, v46 :: v_dual_fmac_f32 v193, 0xbf3f9e67, v32
	v_dual_add_f32 v147, v186, v147 :: v_dual_fmamk_f32 v186, v36, 0xbeb58ec6, v191
	s_delay_alu instid0(VALU_DEP_3) | instskip(SKIP_1) | instid1(VALU_DEP_3)
	v_add_f32_e32 v146, v149, v146
	v_fma_f32 v149, 0x3df6dbef, v37, -v192
	v_dual_add_f32 v147, v186, v147 :: v_dual_fmamk_f32 v186, v39, 0x3df6dbef, v194
	s_delay_alu instid0(VALU_DEP_1) | instskip(SKIP_2) | instid1(VALU_DEP_2)
	v_dual_add_f32 v176, v176, v146 :: v_dual_add_f32 v147, v186, v147
	v_mul_f32_e32 v186, 0xbf6f5d39, v141
	v_mul_f32_e32 v141, 0x3f7e222b, v141
	v_fma_f32 v148, 0xbeb58ec6, v33, -v186
	s_delay_alu instid0(VALU_DEP_1) | instskip(NEXT) | instid1(VALU_DEP_1)
	v_add_f32_e32 v148, v148, v178
	v_add_f32_e32 v146, v149, v148
	v_fma_f32 v149, 0xbf788fa5, v35, -v181
	v_mul_f32_e32 v181, 0x3eedf032, v138
	v_add_f32_e32 v174, v177, v174
	v_fma_f32 v177, 0x3f116cb1, v32, -v179
	v_mul_f32_e32 v138, 0xbe750f2a, v138
	v_add_f32_e32 v164, v167, v164
	v_fma_f32 v167, 0xbeb58ec6, v32, -v169
	s_delay_alu instid0(VALU_DEP_4) | instskip(SKIP_2) | instid1(VALU_DEP_4)
	v_add_f32_e32 v148, v177, v174
	v_add_f32_e32 v174, v175, v176
	v_fma_f32 v177, 0x3f62ad3f, v33, -v183
	v_add_f32_e32 v164, v167, v164
	v_fma_f32 v167, 0x3f62ad3f, v35, -v171
	s_delay_alu instid0(VALU_DEP_4) | instskip(SKIP_2) | instid1(VALU_DEP_3)
	v_dual_add_f32 v148, v149, v148 :: v_dual_add_f32 v149, v180, v174
	v_mul_f32_e32 v174, 0xbf6f5d39, v134
	v_fma_f32 v180, 0xbeb58ec6, v37, -v185
	v_dual_mul_f32 v185, 0x3f29c268, v135 :: v_dual_add_f32 v148, v177, v148
	v_add_f32_e32 v164, v167, v164
	s_delay_alu instid0(VALU_DEP_4) | instskip(SKIP_1) | instid1(VALU_DEP_4)
	v_fma_f32 v183, 0xbeb58ec6, v30, -v174
	v_fma_f32 v167, 0x3f116cb1, v33, -v172
	;; [unrolled: 1-line block ×3, first 2 shown]
	v_add_f32_e32 v148, v180, v148
	s_delay_alu instid0(VALU_DEP_4)
	v_dual_mul_f32 v178, 0xbf6f5d39, v145 :: v_dual_add_f32 v183, v24, v183
	v_mul_f32_e32 v176, 0x3f29c268, v136
	v_mul_f32_e32 v136, 0xbf6f5d39, v136
	v_fmamk_f32 v177, v38, 0x3f62ad3f, v181
	v_mul_f32_e32 v135, 0xbf6f5d39, v135
	v_add_f32_e32 v180, v197, v183
	v_fma_f32 v183, 0x3f62ad3f, v32, -v198
	v_mul_f32_e32 v197, 0xbf7e222b, v139
	v_mul_f32_e32 v139, 0x3f29c268, v139
	v_fmamk_f32 v179, v34, 0xbf3f9e67, v176
	v_fmac_f32_e32 v186, 0xbeb58ec6, v33
	v_add_f32_e32 v180, v183, v180
	v_fma_f32 v183, 0x3df6dbef, v35, -v197
	v_fmac_f32_e32 v174, 0xbeb58ec6, v30
	v_fmac_f32_e32 v185, 0xbf3f9e67, v31
	s_delay_alu instid0(VALU_DEP_3) | instskip(SKIP_2) | instid1(VALU_DEP_3)
	v_dual_fmac_f32 v197, 0x3df6dbef, v35 :: v_dual_add_f32 v180, v183, v180
	v_mul_f32_e32 v183, 0x3f52af12, v143
	v_mul_f32_e32 v143, 0x3eedf032, v143
	v_add_f32_e32 v161, v151, v180
	s_delay_alu instid0(VALU_DEP_3) | instskip(NEXT) | instid1(VALU_DEP_3)
	v_fma_f32 v169, 0x3f116cb1, v37, -v183
	v_fma_f32 v171, 0x3f62ad3f, v37, -v143
	v_fmac_f32_e32 v183, 0x3f116cb1, v37
	v_fmac_f32_e32 v143, 0x3f62ad3f, v37
	s_delay_alu instid0(VALU_DEP_4) | instskip(SKIP_4) | instid1(VALU_DEP_3)
	v_add_f32_e32 v150, v169, v161
	v_add_f32_e32 v161, v168, v165
	v_dual_mul_f32 v165, 0xbf52af12, v145 :: v_dual_mul_f32 v168, 0xbf52af12, v134
	v_fmac_f32_e32 v192, 0x3df6dbef, v37
	v_fma_f32 v169, 0xbeb58ec6, v31, -v135
	v_dual_add_f32 v145, v170, v161 :: v_dual_fmamk_f32 v134, v41, 0x3f116cb1, v165
	v_add_f32_e32 v161, v167, v164
	v_fmamk_f32 v175, v41, 0xbeb58ec6, v178
	v_fmamk_f32 v167, v34, 0xbeb58ec6, v136
	v_fma_f32 v164, 0x3f116cb1, v30, -v168
	v_add_f32_e32 v134, v25, v134
	s_delay_alu instid0(VALU_DEP_4) | instskip(NEXT) | instid1(VALU_DEP_2)
	v_dual_mul_f32 v170, 0x3eedf032, v144 :: v_dual_add_f32 v175, v25, v175
	v_dual_fmac_f32 v135, 0xbeb58ec6, v31 :: v_dual_add_f32 v134, v167, v134
	v_fmamk_f32 v167, v38, 0xbf788fa5, v138
	s_delay_alu instid0(VALU_DEP_3) | instskip(SKIP_2) | instid1(VALU_DEP_3)
	v_add_f32_e32 v175, v179, v175
	v_mul_f32_e32 v179, 0xbf7e222b, v140
	v_mul_f32_e32 v140, 0x3f29c268, v140
	v_dual_add_f32 v134, v167, v134 :: v_dual_add_f32 v175, v177, v175
	v_fmac_f32_e32 v188, 0xbf788fa5, v30
	s_delay_alu instid0(VALU_DEP_3) | instskip(SKIP_2) | instid1(VALU_DEP_3)
	v_dual_fmamk_f32 v167, v40, 0xbf3f9e67, v140 :: v_dual_add_f32 v78, v105, v111
	v_add_f32_e32 v105, v107, v132
	v_add_f32_e32 v107, v113, v112
	v_dual_fmamk_f32 v177, v40, 0x3df6dbef, v179 :: v_dual_add_f32 v134, v167, v134
	v_fmamk_f32 v167, v36, 0x3df6dbef, v142
	s_delay_alu instid0(VALU_DEP_4) | instskip(SKIP_1) | instid1(VALU_DEP_4)
	v_add_f32_e32 v49, v49, v105
	v_add_f32_e32 v77, v78, v110
	;; [unrolled: 1-line block ×3, first 2 shown]
	s_delay_alu instid0(VALU_DEP_4) | instskip(NEXT) | instid1(VALU_DEP_4)
	v_dual_fmamk_f32 v177, v36, 0xbf788fa5, v196 :: v_dual_add_f32 v134, v167, v134
	v_add_f32_e32 v46, v46, v49
	v_dual_add_f32 v49, v74, v73 :: v_dual_add_f32 v164, v24, v164
	v_dual_fmamk_f32 v167, v39, 0x3f62ad3f, v170 :: v_dual_add_f32 v76, v77, v109
	v_dual_add_f32 v48, v48, v107 :: v_dual_add_f32 v77, v114, v162
	s_delay_alu instid0(VALU_DEP_3) | instskip(SKIP_1) | instid1(VALU_DEP_4)
	v_add_f32_e32 v164, v169, v164
	v_fma_f32 v169, 0xbf788fa5, v32, -v137
	v_add_f32_e32 v73, v76, v108
	v_add_f32_e32 v175, v177, v175
	v_dual_mul_f32 v177, 0x3f52af12, v144 :: v_dual_add_f32 v134, v167, v134
	v_add_f32_e32 v49, v49, v72
	v_add_f32_e32 v164, v169, v164
	v_fma_f32 v169, 0xbf3f9e67, v35, -v139
	v_add_f32_e32 v48, v77, v48
	v_add_f32_e32 v74, v130, v166
	;; [unrolled: 1-line block ×5, first 2 shown]
	v_fma_f32 v164, 0x3df6dbef, v33, -v141
	v_fma_f32 v169, 0xbf3f9e67, v37, -v173
	v_add_f32_e32 v46, v74, v48
	v_add_f32_e32 v48, v49, v71
	;; [unrolled: 1-line block ×5, first 2 shown]
	v_fma_f32 v71, 0xbf788fa5, v41, -v182
	v_add_f32_e32 v45, v47, v45
	v_dual_add_f32 v47, v48, v70 :: v_dual_add_f32 v48, v49, v75
	v_fma_f32 v70, 0x3f62ad3f, v34, -v184
	s_delay_alu instid0(VALU_DEP_4) | instskip(SKIP_1) | instid1(VALU_DEP_4)
	v_add_f32_e32 v49, v25, v71
	v_add_f32_e32 v71, v24, v188
	v_dual_add_f32 v47, v47, v69 :: v_dual_add_f32 v48, v48, v44
	v_fma_f32 v69, 0xbf3f9e67, v38, -v187
	s_delay_alu instid0(VALU_DEP_4) | instskip(SKIP_1) | instid1(VALU_DEP_4)
	v_add_f32_e32 v49, v70, v49
	v_fmac_f32_e32 v137, 0xbf788fa5, v32
	v_dual_add_f32 v44, v47, v68 :: v_dual_add_f32 v43, v48, v43
	v_fma_f32 v68, 0xbf3f9e67, v34, -v176
	s_delay_alu instid0(VALU_DEP_4) | instskip(SKIP_1) | instid1(VALU_DEP_4)
	v_add_f32_e32 v47, v69, v49
	v_dual_add_f32 v69, v24, v174 :: v_dual_fmac_f32 v190, 0x3f62ad3f, v31
	v_add_f32_e32 v43, v43, v42
	v_fma_f32 v42, 0xbeb58ec6, v41, -v178
	v_fma_f32 v41, 0x3f116cb1, v41, -v165
	;; [unrolled: 1-line block ×3, first 2 shown]
	v_add_f32_e32 v70, v190, v71
	v_fma_f32 v48, 0x3f116cb1, v40, -v189
	v_add_f32_e32 v42, v25, v42
	v_add_f32_e32 v25, v25, v41
	v_fmac_f32_e32 v139, 0xbf3f9e67, v35
	v_add_f32_e32 v49, v193, v70
	v_add_f32_e32 v47, v48, v47
	v_fma_f32 v48, 0xbeb58ec6, v36, -v191
	v_add_f32_e32 v25, v34, v25
	v_fma_f32 v34, 0xbf788fa5, v38, -v138
	;; [unrolled: 2-line block ×3, first 2 shown]
	v_add_f32_e32 v49, v195, v49
	v_add_f32_e32 v47, v48, v47
	v_dual_add_f32 v25, v34, v25 :: v_dual_fmac_f32 v198, 0x3f62ad3f, v32
	v_fma_f32 v32, 0xbf3f9e67, v40, -v140
	v_add_f32_e32 v42, v68, v42
	v_fma_f32 v68, 0x3df6dbef, v40, -v179
	v_fma_f32 v48, 0x3df6dbef, v39, -v194
	;; [unrolled: 1-line block ×3, first 2 shown]
	v_dual_add_f32 v25, v32, v25 :: v_dual_fmac_f32 v168, 0x3f116cb1, v30
	s_delay_alu instid0(VALU_DEP_4) | instskip(SKIP_2) | instid1(VALU_DEP_4)
	v_dual_add_f32 v49, v186, v49 :: v_dual_add_f32 v42, v68, v42
	v_fma_f32 v68, 0xbf788fa5, v36, -v196
	v_dual_add_f32 v48, v48, v47 :: v_dual_fmac_f32 v141, 0x3df6dbef, v33
	v_dual_add_f32 v33, v35, v25 :: v_dual_add_f32 v24, v24, v168
	s_delay_alu instid0(VALU_DEP_3)
	v_add_f32_e32 v31, v68, v42
	v_add_f32_e32 v47, v192, v49
	;; [unrolled: 1-line block ×3, first 2 shown]
	v_fma_f32 v34, 0x3f116cb1, v39, -v177
	v_add_f32_e32 v24, v135, v24
	v_mul_u32_u24_e32 v32, 52, v123
	v_fma_f32 v35, 0x3f62ad3f, v39, -v170
	v_add_f32_e32 v30, v198, v49
	s_delay_alu instid0(VALU_DEP_4) | instskip(NEXT) | instid1(VALU_DEP_4)
	v_dual_add_f32 v25, v34, v31 :: v_dual_add_f32 v24, v137, v24
	v_or_b32_e32 v32, v32, v122
	s_delay_alu instid0(VALU_DEP_3) | instskip(SKIP_1) | instid1(VALU_DEP_4)
	v_dual_add_f32 v31, v35, v33 :: v_dual_add_f32 v30, v197, v30
	v_fmamk_f32 v199, v39, 0x3f116cb1, v177
	v_add_f32_e32 v24, v139, v24
	s_delay_alu instid0(VALU_DEP_4) | instskip(NEXT) | instid1(VALU_DEP_4)
	v_lshl_add_u32 v32, v32, 3, v121
	v_dual_add_f32 v133, v171, v164 :: v_dual_add_f32 v30, v200, v30
	s_delay_alu instid0(VALU_DEP_3) | instskip(NEXT) | instid1(VALU_DEP_2)
	v_dual_add_f32 v151, v199, v175 :: v_dual_add_f32 v36, v141, v24
	v_add_f32_e32 v24, v183, v30
	s_delay_alu instid0(VALU_DEP_2)
	v_add_f32_e32 v30, v143, v36
	ds_store_2addr_b64 v32, v[43:44], v[45:46] offset1:4
	ds_store_2addr_b64 v32, v[133:134], v[144:145] offset0:8 offset1:12
	ds_store_2addr_b64 v32, v[150:151], v[148:149] offset0:16 offset1:20
	;; [unrolled: 1-line block ×5, first 2 shown]
	ds_store_b64 v32, v[117:118] offset:384
.LBB0_5:
	s_wait_alu 0xfffe
	s_or_b32 exec_lo, exec_lo, s0
	v_add_co_u32 v24, s0, 0xffffffcc, v119
	s_wait_alu 0xf1ff
	v_add_co_ci_u32_e64 v25, null, 0, -1, s0
	v_cmp_gt_u16_e64 s0, 52, v119
	global_wb scope:SCOPE_SE
	s_wait_dscnt 0x0
	s_barrier_signal -1
	s_barrier_wait -1
	global_inv scope:SCOPE_SE
	s_wait_alu 0xf1ff
	v_cndmask_b32_e64 v45, v25, 0, s0
	v_cndmask_b32_e64 v44, v24, v119, s0
	v_and_b32_e32 v27, 0xff, v50
	v_cmp_lt_u16_e64 s1, 51, v119
	v_lshlrev_b32_e32 v174, 3, v119
	s_delay_alu instid0(VALU_DEP_4) | instskip(NEXT) | instid1(VALU_DEP_4)
	v_lshlrev_b64_e32 v[24:25], 3, v[44:45]
	v_mul_lo_u16 v70, 0x4f, v27
	v_and_b32_e32 v27, 0xffff, v54
	s_wait_alu 0xf1ff
	v_cndmask_b32_e64 v45, 0, 0x68, s1
	s_delay_alu instid0(VALU_DEP_4)
	v_add_co_u32 v24, s0, s10, v24
	s_wait_alu 0xf1ff
	v_add_co_ci_u32_e64 v25, s0, s11, v25, s0
	v_lshrrev_b16 v73, 12, v70
	v_add_co_u32 v36, s0, 0xffffffe6, v119
	global_load_b64 v[105:106], v[24:25], off offset:400
	v_and_b32_e32 v26, 0xff, v51
	v_and_b32_e32 v28, 0xffff, v66
	;; [unrolled: 1-line block ×3, first 2 shown]
	s_wait_alu 0xf1ff
	v_add_co_ci_u32_e64 v37, null, 0, -1, s0
	v_mul_lo_u16 v26, 0x4f, v26
	v_mul_u32_u24_e32 v72, 0x4ec5, v28
	v_cmp_gt_u16_e64 s0, 26, v119
	s_delay_alu instid0(VALU_DEP_3)
	v_lshrrev_b16 v71, 12, v26
	v_mul_u32_u24_e32 v26, 0x4ec5, v27
	v_mul_u32_u24_e32 v27, 0x4ec5, v29
	v_mul_lo_u16 v29, v73, 52
	v_lshrrev_b32_e32 v74, 20, v72
	v_mul_lo_u16 v28, v71, 52
	v_lshrrev_b32_e32 v75, 20, v26
	v_lshrrev_b32_e32 v76, 20, v27
	s_wait_alu 0xf1ff
	v_cndmask_b32_e64 v49, v37, v52, s0
	v_mul_lo_u16 v27, v74, 52
	v_sub_nc_u16 v26, v51, v28
	v_sub_nc_u16 v28, v50, v29
	v_mul_lo_u16 v29, v75, 52
	v_mul_lo_u16 v30, v76, 52
	v_sub_nc_u16 v77, v66, v27
	v_and_b32_e32 v78, 0xff, v26
	v_and_b32_e32 v79, 0xff, v28
	v_sub_nc_u16 v54, v54, v29
	v_sub_nc_u16 v55, v55, v30
	v_cndmask_b32_e64 v48, v36, v51, s0
	v_lshlrev_b32_e32 v25, 3, v78
	v_lshlrev_b32_e32 v27, 3, v79
	v_and_b32_e32 v26, 0xffff, v54
	v_mad_u16 v74, 0x68, v74, v77
	v_lshlrev_b64_e32 v[51:52], 4, v[48:49]
	s_clause 0x1
	global_load_b64 v[111:112], v25, s[10:11] offset:400
	global_load_b64 v[113:114], v27, s[10:11] offset:400
	v_and_b32_e32 v24, 0xffff, v77
	v_and_b32_e32 v28, 0xffff, v55
	v_lshlrev_b32_e32 v25, 3, v26
	v_mad_u16 v55, 0x68, v76, v55
	v_add_nc_u32_e32 v141, 0x800, v120
	v_lshlrev_b32_e32 v24, 3, v24
	v_lshlrev_b32_e32 v26, 3, v28
	s_clause 0x2
	global_load_b64 v[115:116], v24, s[10:11] offset:400
	global_load_b64 v[109:110], v25, s[10:11] offset:400
	;; [unrolled: 1-line block ×3, first 2 shown]
	v_add_nc_u32_e32 v69, 0xc00, v120
	ds_load_2addr_b64 v[28:31], v120 offset0:156 offset1:234
	v_and_b32_e32 v55, 0xffff, v55
	ds_load_2addr_b64 v[24:27], v120 offset1:78
	v_lshrrev_b16 v49, 13, v70
	ds_load_2addr_b64 v[32:35], v69 offset0:84 offset1:162
	v_lshrrev_b32_e32 v70, 21, v72
	v_lshl_add_u32 v132, v55, 3, v121
	v_mad_u16 v54, 0x68, v75, v54
	v_and_b32_e32 v74, 0xffff, v74
	v_add_co_u32 v51, s0, s10, v51
	v_mul_lo_u16 v70, 0x68, v70
	s_delay_alu instid0(VALU_DEP_4) | instskip(NEXT) | instid1(VALU_DEP_4)
	v_and_b32_e32 v54, 0xffff, v54
	v_lshl_add_u32 v134, v74, 3, v121
	s_wait_alu 0xf1ff
	v_add_co_ci_u32_e64 v52, s0, s11, v52, s0
	v_sub_nc_u16 v70, v66, v70
	v_lshl_add_u32 v133, v54, 3, v121
	s_delay_alu instid0(VALU_DEP_2) | instskip(SKIP_3) | instid1(VALU_DEP_2)
	v_lshlrev_b16 v75, 4, v70
	s_wait_loadcnt_dscnt 0x500
	v_mul_f32_e32 v76, v33, v106
	v_mul_f32_e32 v77, v32, v106
	v_fma_f32 v32, v32, v105, -v76
	s_delay_alu instid0(VALU_DEP_1) | instskip(NEXT) | instid1(VALU_DEP_1)
	v_dual_fmac_f32 v77, v33, v105 :: v_dual_sub_f32 v32, v24, v32
	v_sub_f32_e32 v33, v25, v77
	s_delay_alu instid0(VALU_DEP_2) | instskip(NEXT) | instid1(VALU_DEP_2)
	v_fma_f32 v24, v24, 2.0, -v32
	v_fma_f32 v25, v25, 2.0, -v33
	s_wait_loadcnt 0x4
	v_mul_f32_e32 v55, v34, v112
	v_mul_f32_e32 v54, v35, v112
	s_delay_alu instid0(VALU_DEP_2)
	v_dual_fmac_f32 v55, v35, v111 :: v_dual_add_nc_u32 v140, 0x1000, v120
	ds_load_2addr_b64 v[36:39], v140 offset0:112 offset1:190
	ds_load_2addr_b64 v[40:43], v141 offset0:56 offset1:134
	v_add_nc_u32_e32 v68, 0x1800, v120
	v_fma_f32 v34, v34, v111, -v54
	s_wait_loadcnt_dscnt 0x201
	v_dual_mul_f32 v76, v38, v116 :: v_dual_and_b32 v71, 0xffff, v71
	v_mul_f32_e32 v74, v39, v116
	s_delay_alu instid0(VALU_DEP_2) | instskip(SKIP_2) | instid1(VALU_DEP_2)
	v_fmac_f32_e32 v76, v39, v115
	v_and_b32_e32 v72, 0xffff, v73
	v_mul_lo_u16 v73, 0x68, v49
	v_mul_u32_u24_e32 v72, 0x68, v72
	s_delay_alu instid0(VALU_DEP_2) | instskip(NEXT) | instid1(VALU_DEP_2)
	v_sub_nc_u16 v73, v50, v73
	v_add_nc_u32_e32 v72, v72, v79
	s_delay_alu instid0(VALU_DEP_1) | instskip(SKIP_1) | instid1(VALU_DEP_1)
	v_lshl_add_u32 v136, v72, 3, v121
	v_mul_f32_e32 v72, v36, v114
	v_fmac_f32_e32 v72, v37, v113
	v_add_nc_u32_e32 v130, v44, v45
	ds_load_2addr_b64 v[44:47], v68 offset0:12 offset1:90
	global_wb scope:SCOPE_SE
	s_wait_loadcnt_dscnt 0x0
	s_barrier_signal -1
	s_barrier_wait -1
	v_lshl_add_u32 v131, v130, 3, v121
	global_inv scope:SCOPE_SE
	ds_store_2addr_b64 v131, v[24:25], v[32:33] offset1:52
	v_dual_sub_f32 v33, v29, v72 :: v_dual_sub_f32 v24, v26, v34
	v_mul_u32_u24_e32 v71, 0x68, v71
	v_sub_f32_e32 v25, v27, v55
	s_delay_alu instid0(VALU_DEP_3) | instskip(NEXT) | instid1(VALU_DEP_4)
	v_fma_f32 v29, v29, 2.0, -v33
	v_fma_f32 v26, v26, 2.0, -v24
	s_delay_alu instid0(VALU_DEP_4) | instskip(NEXT) | instid1(VALU_DEP_4)
	v_add_nc_u32_e32 v71, v71, v78
	v_fma_f32 v27, v27, 2.0, -v25
	v_mul_f32_e32 v77, v45, v110
	v_mul_f32_e32 v78, v44, v110
	s_delay_alu instid0(VALU_DEP_4) | instskip(SKIP_4) | instid1(VALU_DEP_4)
	v_lshl_add_u32 v138, v71, 3, v121
	v_mul_f32_e32 v71, v37, v114
	v_mul_f32_e32 v79, v47, v108
	v_dual_mul_f32 v130, v46, v108 :: v_dual_lshlrev_b32 v67, 3, v67
	v_fmac_f32_e32 v78, v45, v109
	v_fma_f32 v35, v36, v113, -v71
	v_fma_f32 v36, v38, v115, -v74
	;; [unrolled: 1-line block ×3, first 2 shown]
	v_dual_fmac_f32 v130, v47, v107 :: v_dual_and_b32 v73, 0xff, v73
	v_fma_f32 v38, v46, v107, -v79
	v_sub_f32_e32 v32, v28, v35
	v_sub_f32_e32 v34, v30, v36
	;; [unrolled: 1-line block ×3, first 2 shown]
	v_dual_sub_f32 v36, v40, v37 :: v_dual_and_b32 v75, 0xffff, v75
	v_sub_f32_e32 v37, v41, v78
	v_sub_f32_e32 v38, v42, v38
	;; [unrolled: 1-line block ×3, first 2 shown]
	v_fma_f32 v28, v28, 2.0, -v32
	v_fma_f32 v30, v30, 2.0, -v34
	;; [unrolled: 1-line block ×7, first 2 shown]
	ds_store_2addr_b64 v138, v[26:27], v[24:25] offset1:52
	ds_store_2addr_b64 v136, v[28:29], v[32:33] offset1:52
	;; [unrolled: 1-line block ×5, first 2 shown]
	global_wb scope:SCOPE_SE
	s_wait_dscnt 0x0
	s_barrier_signal -1
	s_barrier_wait -1
	global_inv scope:SCOPE_SE
	s_clause 0x1
	global_load_b128 v[36:39], v67, s[10:11] offset:816
	global_load_b128 v[32:35], v[51:52], off offset:816
	v_add_co_u32 v24, s0, s10, v75
	v_lshlrev_b32_e32 v26, 4, v73
	s_wait_alu 0xf1ff
	v_add_co_ci_u32_e64 v25, null, s11, 0, s0
	s_clause 0x1
	global_load_b128 v[28:31], v26, s[10:11] offset:816
	global_load_b128 v[24:27], v[24:25], off offset:816
	ds_load_2addr_b64 v[44:47], v140 offset0:112 offset1:190
	v_and_b32_e32 v40, 0xffff, v49
	v_cmp_lt_u16_e64 s0, 25, v119
	v_lshlrev_b32_e32 v78, 3, v53
	s_wait_alu 0xf1ff
	s_delay_alu instid0(VALU_DEP_2) | instskip(SKIP_2) | instid1(VALU_DEP_1)
	v_cndmask_b32_e64 v49, 0, 0x138, s0
	s_add_nc_u64 s[0:1], s[8:9], 0x1d40
	s_wait_loadcnt_dscnt 0x300
	v_dual_mul_f32 v79, v45, v39 :: v_dual_add_nc_u32 v48, v48, v49
	s_wait_loadcnt 0x2
	v_mul_f32_e32 v149, v46, v35
	v_mul_u32_u24_e32 v51, 0x138, v40
	ds_load_2addr_b64 v[40:43], v141 offset0:56 offset1:134
	v_dual_mul_f32 v139, v44, v39 :: v_dual_and_b32 v52, 0xffff, v70
	v_fmac_f32_e32 v149, v47, v34
	v_add_nc_u32_e32 v49, v51, v73
	ds_load_2addr_b64 v[70:73], v69 offset0:84 offset1:162
	v_dual_mul_f32 v148, v47, v35 :: v_dual_fmac_f32 v139, v45, v38
	v_lshl_add_u32 v135, v49, 3, v121
	s_wait_dscnt 0x1
	v_mul_f32_e32 v147, v42, v33
	v_lshl_add_u32 v130, v52, 3, v121
	ds_load_2addr_b64 v[51:54], v68 offset0:12 offset1:90
	ds_load_2addr_b64 v[74:77], v120 offset1:78
	ds_load_2addr_b64 v[142:145], v120 offset0:156 offset1:234
	v_mul_f32_e32 v49, v40, v37
	s_wait_loadcnt_dscnt 0x103
	v_mul_f32_e32 v151, v70, v29
	v_mul_f32_e32 v146, v43, v33
	;; [unrolled: 1-line block ×3, first 2 shown]
	s_wait_loadcnt 0x0
	v_mul_f32_e32 v154, v73, v25
	v_mul_f32_e32 v155, v72, v25
	v_fmac_f32_e32 v49, v41, v36
	v_fmac_f32_e32 v147, v43, v32
	v_fma_f32 v42, v42, v32, -v146
	v_fma_f32 v43, v70, v28, -v150
	v_fmac_f32_e32 v151, v71, v28
	v_fma_f32 v45, v72, v24, -v154
	v_dual_sub_f32 v72, v147, v149 :: v_dual_add_nc_u32 v55, 0x1000, v130
	global_wb scope:SCOPE_SE
	s_wait_dscnt 0x0
	s_barrier_signal -1
	s_barrier_wait -1
	global_inv scope:SCOPE_SE
	v_mul_f32_e32 v156, v54, v27
	v_mul_f32_e32 v153, v51, v31
	v_lshl_add_u32 v137, v48, 3, v121
	v_mul_f32_e32 v48, v41, v37
	v_mul_f32_e32 v152, v52, v31
	;; [unrolled: 1-line block ×3, first 2 shown]
	v_fma_f32 v41, v44, v38, -v79
	v_fma_f32 v44, v46, v34, -v148
	;; [unrolled: 1-line block ×4, first 2 shown]
	v_fmac_f32_e32 v153, v52, v30
	v_fmac_f32_e32 v155, v73, v24
	v_fma_f32 v51, v53, v26, -v156
	v_dual_add_f32 v48, v40, v41 :: v_dual_fmac_f32 v157, v54, v26
	v_add_f32_e32 v52, v75, v49
	v_sub_f32_e32 v54, v49, v139
	v_add_f32_e32 v49, v49, v139
	v_dual_add_f32 v71, v42, v44 :: v_dual_add_f32 v148, v43, v46
	v_dual_add_f32 v79, v147, v149 :: v_dual_add_f32 v158, v45, v51
	v_dual_add_f32 v73, v77, v147 :: v_dual_sub_f32 v150, v151, v153
	v_add_f32_e32 v152, v143, v151
	v_dual_add_f32 v151, v151, v153 :: v_dual_add_f32 v160, v145, v155
	v_dual_add_f32 v47, v74, v40 :: v_dual_sub_f32 v70, v40, v41
	v_dual_add_f32 v53, v76, v42 :: v_dual_sub_f32 v146, v42, v44
	;; [unrolled: 1-line block ×3, first 2 shown]
	s_delay_alu instid0(VALU_DEP_2)
	v_dual_sub_f32 v159, v155, v157 :: v_dual_add_f32 v44, v53, v44
	v_fma_f32 v42, -0.5, v48, v74
	v_add_f32_e32 v155, v155, v157
	v_fma_f32 v43, -0.5, v49, v75
	v_fma_f32 v76, -0.5, v71, v76
	v_dual_fmac_f32 v77, -0.5, v79 :: v_dual_add_f32 v46, v147, v46
	v_dual_add_f32 v156, v144, v45 :: v_dual_sub_f32 v161, v45, v51
	v_fma_f32 v48, -0.5, v148, v142
	v_fma_f32 v49, -0.5, v151, v143
	v_dual_add_f32 v40, v47, v41 :: v_dual_add_f32 v41, v52, v139
	v_add_f32_e32 v45, v73, v149
	v_add_f32_e32 v47, v152, v153
	v_fma_f32 v144, -0.5, v158, v144
	v_fmamk_f32 v53, v54, 0x3f5db3d7, v42
	v_fmac_f32_e32 v42, 0xbf5db3d7, v54
	v_dual_add_f32 v52, v160, v157 :: v_dual_fmac_f32 v145, -0.5, v155
	v_fmamk_f32 v54, v70, 0xbf5db3d7, v43
	v_dual_fmac_f32 v43, 0x3f5db3d7, v70 :: v_dual_fmamk_f32 v70, v72, 0x3f5db3d7, v76
	v_fmamk_f32 v71, v146, 0xbf5db3d7, v77
	v_dual_add_f32 v51, v156, v51 :: v_dual_fmac_f32 v76, 0xbf5db3d7, v72
	v_dual_fmac_f32 v77, 0x3f5db3d7, v146 :: v_dual_fmamk_f32 v72, v150, 0x3f5db3d7, v48
	v_dual_fmac_f32 v48, 0xbf5db3d7, v150 :: v_dual_fmamk_f32 v73, v154, 0xbf5db3d7, v49
	;; [unrolled: 1-line block ×4, first 2 shown]
	v_fmac_f32_e32 v145, 0x3f5db3d7, v161
	ds_store_2addr_b64 v120, v[40:41], v[53:54] offset1:104
	ds_store_b64 v120, v[42:43] offset:1664
	ds_store_2addr_b64 v137, v[44:45], v[70:71] offset1:104
	ds_store_b64 v137, v[76:77] offset:1664
	;; [unrolled: 2-line block ×3, first 2 shown]
	ds_store_2addr_b64 v55, v[51:52], v[74:75] offset0:112 offset1:216
	ds_store_b64 v130, v[144:145] offset:6656
	global_wb scope:SCOPE_SE
	s_wait_dscnt 0x0
	s_barrier_signal -1
	s_barrier_wait -1
	global_inv scope:SCOPE_SE
	global_load_b128 v[52:55], v67, s[10:11] offset:2480
	v_lshlrev_b32_e32 v40, 4, v50
	global_load_b128 v[48:51], v78, s[10:11] offset:2480
	v_lshlrev_b32_e32 v41, 4, v66
	s_clause 0x1
	global_load_b128 v[44:47], v40, s[10:11] offset:2480
	global_load_b128 v[40:43], v41, s[10:11] offset:2480
	ds_load_2addr_b64 v[70:73], v141 offset0:56 offset1:134
	ds_load_2addr_b64 v[74:77], v140 offset0:112 offset1:190
	;; [unrolled: 1-line block ×4, first 2 shown]
	ds_load_2addr_b64 v[150:153], v120 offset1:78
	ds_load_2addr_b64 v[154:157], v120 offset0:156 offset1:234
	v_lshl_add_u32 v139, v119, 3, v121
	s_wait_loadcnt_dscnt 0x305
	v_mul_f32_e32 v66, v71, v53
	s_wait_loadcnt_dscnt 0x204
	v_dual_mul_f32 v67, v70, v53 :: v_dual_mul_f32 v160, v77, v51
	v_dual_mul_f32 v79, v74, v55 :: v_dual_mul_f32 v158, v73, v49
	;; [unrolled: 1-line block ×3, first 2 shown]
	s_wait_loadcnt_dscnt 0x102
	v_mul_f32_e32 v164, v147, v47
	v_dual_mul_f32 v161, v76, v51 :: v_dual_mul_f32 v162, v143, v45
	v_fmac_f32_e32 v67, v71, v52
	v_fma_f32 v71, v72, v48, -v158
	s_wait_loadcnt 0x0
	v_dual_mul_f32 v165, v146, v47 :: v_dual_mul_f32 v166, v145, v41
	v_fma_f32 v66, v70, v52, -v66
	v_fma_f32 v70, v74, v54, -v78
	;; [unrolled: 1-line block ×3, first 2 shown]
	s_wait_dscnt 0x1
	v_dual_add_f32 v146, v152, v71 :: v_dual_fmac_f32 v159, v73, v48
	v_fma_f32 v73, v142, v44, -v162
	v_fmac_f32_e32 v79, v75, v54
	v_dual_mul_f32 v163, v142, v45 :: v_dual_mul_f32 v168, v149, v43
	v_mul_f32_e32 v167, v144, v41
	v_fma_f32 v72, v76, v50, -v160
	v_add_f32_e32 v76, v150, v66
	v_fma_f32 v75, v144, v40, -v166
	v_add_f32_e32 v142, v151, v67
	s_wait_dscnt 0x0
	v_dual_add_f32 v160, v154, v73 :: v_dual_fmac_f32 v161, v77, v50
	v_add_f32_e32 v144, v67, v79
	v_mul_f32_e32 v169, v148, v43
	v_dual_fmac_f32 v163, v143, v44 :: v_dual_add_f32 v162, v73, v74
	v_dual_fmac_f32 v165, v147, v46 :: v_dual_add_f32 v170, v156, v75
	v_fma_f32 v78, v148, v42, -v168
	s_delay_alu instid0(VALU_DEP_3)
	v_dual_add_f32 v77, v66, v70 :: v_dual_add_f32 v166, v155, v163
	v_dual_fmac_f32 v167, v145, v40 :: v_dual_add_f32 v158, v159, v161
	v_add_f32_e32 v147, v71, v72
	v_dual_sub_f32 v148, v159, v161 :: v_dual_fmac_f32 v169, v149, v42
	v_sub_f32_e32 v164, v163, v165
	v_dual_sub_f32 v143, v67, v79 :: v_dual_sub_f32 v168, v73, v74
	s_delay_alu instid0(VALU_DEP_3)
	v_dual_sub_f32 v145, v66, v70 :: v_dual_sub_f32 v172, v167, v169
	v_add_f32_e32 v66, v76, v70
	v_fma_f32 v70, -0.5, v77, v150
	v_add_f32_e32 v171, v75, v78
	v_add_f32_e32 v149, v153, v159
	v_dual_sub_f32 v159, v71, v72 :: v_dual_add_f32 v74, v160, v74
	v_add_f32_e32 v163, v163, v165
	v_add_f32_e32 v173, v157, v167
	v_fma_f32 v71, -0.5, v144, v151
	v_fma_f32 v152, -0.5, v147, v152
	v_add_f32_e32 v167, v167, v169
	v_fma_f32 v76, -0.5, v162, v154
	v_dual_add_f32 v67, v142, v79 :: v_dual_fmamk_f32 v142, v143, 0x3f5db3d7, v70
	v_fmac_f32_e32 v70, 0xbf5db3d7, v143
	v_fma_f32 v156, -0.5, v171, v156
	v_fmac_f32_e32 v153, -0.5, v158
	v_sub_f32_e32 v175, v75, v78
	v_add_f32_e32 v78, v170, v78
	v_fma_f32 v77, -0.5, v163, v155
	v_fmamk_f32 v143, v145, 0xbf5db3d7, v71
	v_dual_fmamk_f32 v144, v148, 0x3f5db3d7, v152 :: v_dual_fmac_f32 v157, -0.5, v167
	v_dual_fmac_f32 v71, 0x3f5db3d7, v145 :: v_dual_add_f32 v72, v146, v72
	v_dual_add_f32 v73, v149, v161 :: v_dual_fmac_f32 v152, 0xbf5db3d7, v148
	v_fmamk_f32 v148, v172, 0x3f5db3d7, v156
	v_fmamk_f32 v145, v159, 0xbf5db3d7, v153
	v_add_f32_e32 v79, v173, v169
	v_fmac_f32_e32 v153, 0x3f5db3d7, v159
	v_dual_add_f32 v75, v166, v165 :: v_dual_fmac_f32 v156, 0xbf5db3d7, v172
	v_fmamk_f32 v146, v164, 0x3f5db3d7, v76
	v_dual_fmac_f32 v76, 0xbf5db3d7, v164 :: v_dual_fmamk_f32 v147, v168, 0xbf5db3d7, v77
	v_fmac_f32_e32 v77, 0x3f5db3d7, v168
	v_fmamk_f32 v149, v175, 0xbf5db3d7, v157
	v_fmac_f32_e32 v157, 0x3f5db3d7, v175
	ds_store_b64 v120, v[142:143] offset:2496
	ds_store_b64 v139, v[70:71] offset:4992
	ds_store_2addr_b64 v120, v[66:67], v[72:73] offset1:78
	ds_store_b64 v139, v[144:145] offset:3120
	ds_store_b64 v139, v[152:153] offset:5616
	ds_store_2addr_b64 v120, v[74:75], v[78:79] offset0:156 offset1:234
	ds_store_2addr_b64 v69, v[146:147], v[148:149] offset0:84 offset1:162
	;; [unrolled: 1-line block ×3, first 2 shown]
	global_wb scope:SCOPE_SE
	s_wait_dscnt 0x0
	s_barrier_signal -1
	s_barrier_wait -1
	global_inv scope:SCOPE_SE
	s_clause 0xb
	global_load_b64 v[58:59], v[58:59], off offset:7488
	global_load_b64 v[66:67], v174, s[0:1] offset:3744
	global_load_b64 v[78:79], v174, s[0:1] offset:624
	;; [unrolled: 1-line block ×11, first 2 shown]
	ds_load_2addr_b64 v[70:73], v120 offset1:78
	ds_load_2addr_b64 v[74:77], v69 offset0:84 offset1:162
	ds_load_2addr_b64 v[142:145], v120 offset0:156 offset1:234
	;; [unrolled: 1-line block ×5, first 2 shown]
	s_wait_loadcnt_dscnt 0xb05
	v_mul_f32_e32 v177, v71, v59
	v_mul_f32_e32 v176, v70, v59
	s_wait_loadcnt_dscnt 0xa04
	v_mul_f32_e32 v178, v75, v67
	v_mul_f32_e32 v59, v74, v67
	s_wait_loadcnt 0x9
	v_mul_f32_e32 v179, v73, v79
	v_mul_f32_e32 v67, v72, v79
	s_wait_loadcnt 0x8
	v_mul_f32_e32 v180, v77, v159
	v_mul_f32_e32 v79, v76, v159
	s_wait_loadcnt_dscnt 0x703
	v_mul_f32_e32 v181, v143, v161
	s_wait_loadcnt_dscnt 0x602
	v_dual_mul_f32 v159, v142, v161 :: v_dual_mul_f32 v182, v147, v163
	v_mul_f32_e32 v161, v146, v163
	s_wait_loadcnt 0x5
	v_mul_f32_e32 v183, v145, v165
	s_wait_loadcnt 0x4
	v_dual_mul_f32 v163, v144, v165 :: v_dual_mul_f32 v184, v149, v167
	v_mul_f32_e32 v165, v148, v167
	s_wait_loadcnt_dscnt 0x301
	v_mul_f32_e32 v185, v151, v169
	s_wait_loadcnt_dscnt 0x200
	v_dual_mul_f32 v167, v150, v169 :: v_dual_mul_f32 v186, v155, v171
	v_mul_f32_e32 v169, v154, v171
	s_wait_loadcnt 0x1
	v_mul_f32_e32 v187, v153, v173
	s_wait_loadcnt 0x0
	v_dual_mul_f32 v171, v152, v173 :: v_dual_mul_f32 v188, v157, v175
	v_mul_f32_e32 v173, v156, v175
	v_fma_f32 v175, v70, v58, -v177
	v_fmac_f32_e32 v176, v71, v58
	v_fma_f32 v58, v74, v66, -v178
	v_fmac_f32_e32 v59, v75, v66
	;; [unrolled: 2-line block ×12, first 2 shown]
	ds_store_2addr_b64 v120, v[175:176], v[66:67] offset1:78
	ds_store_2addr_b64 v69, v[58:59], v[78:79] offset0:84 offset1:162
	ds_store_2addr_b64 v120, v[158:159], v[162:163] offset0:156 offset1:234
	;; [unrolled: 1-line block ×5, first 2 shown]
	global_wb scope:SCOPE_SE
	s_wait_dscnt 0x0
	s_barrier_signal -1
	s_barrier_wait -1
	global_inv scope:SCOPE_SE
	ds_load_2addr_b64 v[70:73], v120 offset1:78
	ds_load_2addr_b64 v[74:77], v69 offset0:84 offset1:162
	ds_load_2addr_b64 v[142:145], v120 offset0:156 offset1:234
	;; [unrolled: 1-line block ×5, first 2 shown]
	global_wb scope:SCOPE_SE
	s_wait_dscnt 0x0
	s_barrier_signal -1
	s_barrier_wait -1
	global_inv scope:SCOPE_SE
	v_dual_sub_f32 v78, v70, v74 :: v_dual_sub_f32 v79, v71, v75
	v_dual_sub_f32 v74, v72, v76 :: v_dual_sub_f32 v75, v73, v77
	;; [unrolled: 1-line block ×6, first 2 shown]
	v_fma_f32 v76, v70, 2.0, -v78
	v_fma_f32 v77, v71, 2.0, -v79
	;; [unrolled: 1-line block ×12, first 2 shown]
	ds_store_b128 v65, v[76:79]
	ds_store_b128 v64, v[72:75]
	;; [unrolled: 1-line block ×6, first 2 shown]
	global_wb scope:SCOPE_SE
	s_wait_dscnt 0x0
	s_barrier_signal -1
	s_barrier_wait -1
	global_inv scope:SCOPE_SE
	ds_load_2addr_b64 v[58:61], v69 offset0:84 offset1:162
	ds_load_2addr_b64 v[62:65], v140 offset0:112 offset1:190
	;; [unrolled: 1-line block ×3, first 2 shown]
	ds_load_2addr_b64 v[142:145], v120 offset1:78
	ds_load_2addr_b64 v[146:149], v120 offset0:156 offset1:234
	ds_load_2addr_b64 v[150:153], v141 offset0:56 offset1:134
	global_wb scope:SCOPE_SE
	s_wait_dscnt 0x0
	s_barrier_signal -1
	s_barrier_wait -1
	global_inv scope:SCOPE_SE
	v_mul_f32_e32 v70, v57, v59
	v_mul_f32_e32 v71, v57, v58
	;; [unrolled: 1-line block ×11, first 2 shown]
	v_dual_mul_f32 v57, v57, v68 :: v_dual_fmac_f32 v70, v56, v58
	v_fma_f32 v59, v56, v59, -v71
	v_fmac_f32_e32 v72, v56, v60
	v_fma_f32 v60, v56, v61, -v73
	v_fmac_f32_e32 v76, v56, v62
	;; [unrolled: 2-line block ×5, first 2 shown]
	v_fma_f32 v56, v56, v69, -v57
	v_dual_sub_f32 v58, v142, v70 :: v_dual_sub_f32 v59, v143, v59
	v_sub_f32_e32 v74, v144, v72
	v_sub_f32_e32 v75, v145, v60
	v_dual_sub_f32 v66, v146, v76 :: v_dual_sub_f32 v67, v147, v61
	v_dual_sub_f32 v62, v148, v77 :: v_dual_sub_f32 v63, v149, v63
	v_sub_f32_e32 v70, v150, v78
	v_dual_sub_f32 v78, v152, v154 :: v_dual_sub_f32 v71, v151, v64
	v_sub_f32_e32 v79, v153, v56
	v_fma_f32 v56, v142, 2.0, -v58
	v_fma_f32 v57, v143, 2.0, -v59
	;; [unrolled: 1-line block ×12, first 2 shown]
	ds_store_2addr_b64 v129, v[56:57], v[58:59] offset1:2
	ds_store_2addr_b64 v128, v[72:73], v[74:75] offset1:2
	ds_store_2addr_b64 v127, v[64:65], v[66:67] offset1:2
	ds_store_2addr_b64 v126, v[60:61], v[62:63] offset1:2
	ds_store_2addr_b64 v125, v[68:69], v[70:71] offset1:2
	ds_store_2addr_b64 v124, v[76:77], v[78:79] offset1:2
	global_wb scope:SCOPE_SE
	s_wait_dscnt 0x0
	s_barrier_signal -1
	s_barrier_wait -1
	global_inv scope:SCOPE_SE
	s_and_saveexec_b32 s0, vcc_lo
	s_cbranch_execz .LBB0_7
; %bb.6:
	v_add_nc_u32_e32 v76, 0x1400, v120
	ds_load_2addr_b64 v[56:59], v120 offset1:72
	ds_load_2addr_b64 v[72:75], v120 offset0:144 offset1:216
	ds_load_2addr_b64 v[64:67], v141 offset0:32 offset1:104
	ds_load_2addr_b64 v[60:63], v141 offset0:176 offset1:248
	ds_load_2addr_b64 v[68:71], v140 offset0:64 offset1:136
	ds_load_2addr_b64 v[76:79], v76 offset0:80 offset1:152
	ds_load_b64 v[117:118], v120 offset:6912
.LBB0_7:
	s_wait_alu 0xfffe
	s_or_b32 exec_lo, exec_lo, s0
	v_add_nc_u32_e32 v125, 0x4e0, v120
	v_add_nc_u32_e32 v124, 0x750, v120
	global_wb scope:SCOPE_SE
	s_wait_dscnt 0x0
	s_barrier_signal -1
	s_barrier_wait -1
	global_inv scope:SCOPE_SE
	s_and_saveexec_b32 s0, vcc_lo
	s_cbranch_execz .LBB0_9
; %bb.8:
	v_dual_mul_f32 v127, v13, v59 :: v_dual_mul_f32 v126, v23, v118
	v_dual_mul_f32 v128, v23, v117 :: v_dual_mul_f32 v13, v13, v58
	;; [unrolled: 1-line block ×3, first 2 shown]
	s_delay_alu instid0(VALU_DEP_3) | instskip(SKIP_1) | instid1(VALU_DEP_4)
	v_dual_fmac_f32 v127, v12, v58 :: v_dual_fmac_f32 v126, v22, v117
	v_dual_mul_f32 v58, v15, v73 :: v_dual_mul_f32 v23, v21, v79
	v_fma_f32 v22, v22, v118, -v128
	v_fma_f32 v117, v12, v59, -v13
	s_delay_alu instid0(VALU_DEP_3) | instskip(SKIP_1) | instid1(VALU_DEP_3)
	v_dual_sub_f32 v13, v127, v126 :: v_dual_fmac_f32 v58, v14, v72
	v_mul_f32_e32 v118, v21, v78
	v_dual_fmac_f32 v23, v20, v78 :: v_dual_add_f32 v128, v22, v117
	v_mul_f32_e32 v15, v15, v72
	s_delay_alu instid0(VALU_DEP_4) | instskip(SKIP_1) | instid1(VALU_DEP_4)
	v_mul_f32_e32 v129, 0xbf7e222b, v13
	v_mul_f32_e32 v59, v9, v75
	v_dual_sub_f32 v12, v58, v23 :: v_dual_mul_f32 v21, v19, v77
	v_fma_f32 v20, v20, v79, -v118
	v_fma_f32 v78, v14, v73, -v15
	v_fmamk_f32 v72, v128, 0x3df6dbef, v129
	v_dual_fmac_f32 v59, v8, v74 :: v_dual_mul_f32 v14, v19, v76
	v_dual_mul_f32 v15, v9, v74 :: v_dual_mul_f32 v74, 0xbe750f2a, v12
	s_delay_alu instid0(VALU_DEP_4) | instskip(NEXT) | instid1(VALU_DEP_3)
	v_dual_fmac_f32 v21, v18, v76 :: v_dual_add_f32 v76, v20, v78
	v_fma_f32 v18, v18, v77, -v14
	v_mul_f32_e32 v19, v17, v71
	v_mul_f32_e32 v79, v1, v67
	s_delay_alu instid0(VALU_DEP_4) | instskip(SKIP_3) | instid1(VALU_DEP_4)
	v_dual_sub_f32 v9, v59, v21 :: v_dual_fmamk_f32 v14, v76, 0xbf788fa5, v74
	v_fma_f32 v73, v8, v75, -v15
	v_add_f32_e32 v8, v57, v72
	v_mul_f32_e32 v72, v11, v65
	v_mul_f32_e32 v75, 0x3f6f5d39, v9
	v_fmac_f32_e32 v19, v16, v70
	s_delay_alu instid0(VALU_DEP_4) | instskip(NEXT) | instid1(VALU_DEP_4)
	v_dual_mul_f32 v15, v17, v70 :: v_dual_add_f32 v8, v14, v8
	v_fmac_f32_e32 v72, v10, v64
	v_add_f32_e32 v77, v18, v73
	v_mul_f32_e32 v11, v11, v64
	v_mul_f32_e32 v64, v7, v69
	v_fma_f32 v70, v16, v71, -v15
	v_fmac_f32_e32 v79, v0, v66
	v_fmamk_f32 v14, v77, 0xbeb58ec6, v75
	v_fma_f32 v71, v10, v65, -v11
	v_fmac_f32_e32 v64, v6, v68
	v_dual_mul_f32 v10, v7, v68 :: v_dual_mul_f32 v1, v1, v66
	s_delay_alu instid0(VALU_DEP_4) | instskip(SKIP_2) | instid1(VALU_DEP_4)
	v_add_f32_e32 v14, v14, v8
	v_sub_f32_e32 v8, v72, v19
	v_add_f32_e32 v68, v70, v71
	v_fma_f32 v69, v6, v69, -v10
	v_fma_f32 v118, v0, v67, -v1
	v_dual_fmac_f32 v140, v2, v60 :: v_dual_sub_f32 v143, v117, v22
	v_mul_f32_e32 v65, 0x3eedf032, v8
	s_delay_alu instid0(VALU_DEP_3) | instskip(SKIP_1) | instid1(VALU_DEP_4)
	v_dual_sub_f32 v7, v79, v64 :: v_dual_add_f32 v142, v69, v118
	v_fmac_f32_e32 v141, v4, v62
	v_mul_f32_e32 v67, 0xbf7e222b, v143
	s_delay_alu instid0(VALU_DEP_4) | instskip(NEXT) | instid1(VALU_DEP_4)
	v_fmamk_f32 v0, v68, 0x3f62ad3f, v65
	v_mul_f32_e32 v66, 0xbf52af12, v7
	v_dual_sub_f32 v144, v78, v20 :: v_dual_mul_f32 v5, v5, v62
	v_dual_sub_f32 v6, v140, v141 :: v_dual_add_f32 v11, v23, v58
	s_delay_alu instid0(VALU_DEP_3) | instskip(NEXT) | instid1(VALU_DEP_2)
	v_dual_add_f32 v0, v0, v14 :: v_dual_fmamk_f32 v1, v142, 0x3f116cb1, v66
	v_dual_add_f32 v10, v126, v127 :: v_dual_mul_f32 v145, 0xbf29c268, v6
	s_delay_alu instid0(VALU_DEP_4) | instskip(NEXT) | instid1(VALU_DEP_3)
	v_dual_mul_f32 v146, 0xbe750f2a, v144 :: v_dual_sub_f32 v147, v73, v18
	v_add_f32_e32 v0, v1, v0
	s_delay_alu instid0(VALU_DEP_3) | instskip(SKIP_1) | instid1(VALU_DEP_4)
	v_fma_f32 v1, 0x3df6dbef, v10, -v67
	v_dual_mul_f32 v3, v3, v60 :: v_dual_add_f32 v14, v21, v59
	v_fma_f32 v15, 0xbf788fa5, v11, -v146
	v_fma_f32 v149, v4, v63, -v5
	s_delay_alu instid0(VALU_DEP_4) | instskip(NEXT) | instid1(VALU_DEP_4)
	v_dual_add_f32 v1, v56, v1 :: v_dual_mul_f32 v148, 0x3f6f5d39, v147
	v_fma_f32 v151, v2, v61, -v3
	v_sub_f32_e32 v150, v71, v70
	v_mul_f32_e32 v4, 0xbf29c268, v13
	s_delay_alu instid0(VALU_DEP_4) | instskip(SKIP_4) | instid1(VALU_DEP_4)
	v_add_f32_e32 v1, v15, v1
	v_fma_f32 v2, 0xbeb58ec6, v14, -v148
	v_add_f32_e32 v153, v149, v151
	v_dual_add_f32 v15, v19, v72 :: v_dual_mul_f32 v152, 0x3eedf032, v150
	v_dual_sub_f32 v154, v118, v69 :: v_dual_fmamk_f32 v3, v128, 0xbf3f9e67, v4
	v_dual_add_f32 v1, v2, v1 :: v_dual_add_f32 v16, v64, v79
	s_delay_alu instid0(VALU_DEP_3) | instskip(NEXT) | instid1(VALU_DEP_3)
	v_fma_f32 v2, 0x3f62ad3f, v15, -v152
	v_mul_f32_e32 v155, 0xbf52af12, v154
	v_dual_fmamk_f32 v17, v153, 0xbf3f9e67, v145 :: v_dual_sub_f32 v156, v151, v149
	s_delay_alu instid0(VALU_DEP_3) | instskip(NEXT) | instid1(VALU_DEP_3)
	v_dual_add_f32 v3, v57, v3 :: v_dual_add_f32 v2, v2, v1
	v_fma_f32 v60, 0x3f116cb1, v16, -v155
	v_mul_f32_e32 v5, 0x3f7e222b, v12
	s_delay_alu instid0(VALU_DEP_4) | instskip(NEXT) | instid1(VALU_DEP_3)
	v_dual_mul_f32 v62, 0xbf52af12, v9 :: v_dual_add_f32 v1, v17, v0
	v_dual_add_f32 v17, v141, v140 :: v_dual_add_f32 v0, v60, v2
	s_delay_alu instid0(VALU_DEP_3)
	v_fmamk_f32 v61, v76, 0x3df6dbef, v5
	v_mul_f32_e32 v157, 0xbf29c268, v156
	v_mul_f32_e32 v163, 0xbf788fa5, v128
	;; [unrolled: 1-line block ×3, first 2 shown]
	v_dual_mul_f32 v167, 0x3eedf032, v154 :: v_dual_mul_f32 v174, 0x3eedf032, v144
	v_add_f32_e32 v2, v61, v3
	v_mul_f32_e32 v61, 0xbf29c268, v143
	v_fma_f32 v158, 0xbf3f9e67, v17, -v157
	v_fmamk_f32 v3, v77, 0x3f116cb1, v62
	v_fmamk_f32 v165, v13, 0x3e750f2a, v163
	v_mul_f32_e32 v162, 0xbf6f5d39, v6
	v_fma_f32 v159, 0xbf3f9e67, v10, -v61
	v_dual_add_f32 v0, v158, v0 :: v_dual_mul_f32 v171, 0xbeb58ec6, v142
	s_delay_alu instid0(VALU_DEP_4) | instskip(NEXT) | instid1(VALU_DEP_4)
	v_add_f32_e32 v165, v57, v165
	v_fmamk_f32 v164, v153, 0xbeb58ec6, v162
	s_delay_alu instid0(VALU_DEP_4)
	v_add_f32_e32 v158, v56, v159
	v_fma_f32 v159, 0x3df6dbef, v11, -v160
	v_mul_f32_e32 v60, 0x3e750f2a, v8
	v_mul_f32_e32 v166, 0x3f62ad3f, v76
	v_add_f32_e32 v2, v3, v2
	v_fma_f32 v170, 0x3f62ad3f, v16, -v167
	v_mul_f32_e32 v161, 0xbf52af12, v147
	v_fmamk_f32 v3, v68, 0xbf788fa5, v60
	v_fmamk_f32 v168, v12, 0xbeedf032, v166
	v_mul_f32_e32 v63, 0x3eedf032, v7
	v_fma_f32 v62, 0x3f116cb1, v77, -v62
	v_fmamk_f32 v175, v7, 0x3f6f5d39, v171
	v_add_f32_e32 v2, v3, v2
	v_mul_f32_e32 v180, 0x3f116cb1, v153
	v_fmamk_f32 v3, v142, 0x3f62ad3f, v63
	v_fma_f32 v4, 0xbf3f9e67, v128, -v4
	v_fma_f32 v178, 0x3df6dbef, v76, -v5
	v_fmac_f32_e32 v146, 0xbf788fa5, v11
	v_mul_f32_e32 v179, 0xbf6f5d39, v154
	v_add_f32_e32 v2, v3, v2
	v_add_f32_e32 v3, v159, v158
	v_fma_f32 v158, 0x3f116cb1, v14, -v161
	v_fmac_f32_e32 v61, 0xbf3f9e67, v10
	v_fmamk_f32 v181, v6, 0xbf52af12, v180
	v_fma_f32 v60, 0xbf788fa5, v68, -v60
	v_fmac_f32_e32 v67, 0x3df6dbef, v10
	v_add_f32_e32 v3, v158, v3
	v_mul_f32_e32 v159, 0x3e750f2a, v150
	v_dual_add_f32 v61, v56, v61 :: v_dual_fmac_f32 v160, 0x3df6dbef, v11
	v_fma_f32 v65, 0x3f62ad3f, v68, -v65
	v_fma_f32 v66, 0x3f116cb1, v142, -v66
	s_delay_alu instid0(VALU_DEP_4)
	v_fma_f32 v158, 0xbf788fa5, v15, -v159
	v_fmac_f32_e32 v167, 0x3f62ad3f, v16
	v_add_f32_e32 v61, v160, v61
	v_mul_f32_e32 v160, 0x3f62ad3f, v77
	v_fma_f32 v74, 0xbf788fa5, v76, -v74
	v_dual_add_f32 v158, v158, v3 :: v_dual_add_f32 v3, v164, v2
	v_add_f32_e32 v2, v168, v165
	v_mul_f32_e32 v168, 0xbf6f5d39, v156
	v_fma_f32 v63, 0x3f62ad3f, v142, -v63
	s_delay_alu instid0(VALU_DEP_4)
	v_add_f32_e32 v158, v170, v158
	v_mul_f32_e32 v170, 0xbe750f2a, v143
	v_fmac_f32_e32 v148, 0xbeb58ec6, v14
	v_fma_f32 v172, 0xbeb58ec6, v17, -v168
	v_mul_f32_e32 v169, 0xbf3f9e67, v77
	v_fma_f32 v145, 0xbf3f9e67, v153, -v145
	v_fmamk_f32 v173, v10, 0xbf788fa5, v170
	v_mul_f32_e32 v165, 0x3f116cb1, v68
	v_add_f32_e32 v4, v57, v4
	v_fmamk_f32 v164, v9, 0x3f29c268, v169
	v_mul_f32_e32 v184, 0x3f29c268, v150
	v_mul_f32_e32 v190, 0xbeb58ec6, v68
	v_fmac_f32_e32 v166, 0x3eedf032, v12
	s_delay_alu instid0(VALU_DEP_4) | instskip(SKIP_4) | instid1(VALU_DEP_4)
	v_dual_fmac_f32 v159, 0xbf788fa5, v15 :: v_dual_add_f32 v2, v164, v2
	v_fmamk_f32 v164, v8, 0xbf52af12, v165
	v_dual_add_f32 v4, v178, v4 :: v_dual_fmac_f32 v161, 0x3f116cb1, v14
	v_mul_f32_e32 v178, 0x3eedf032, v147
	v_mul_f32_e32 v183, 0x3e750f2a, v154
	v_add_f32_e32 v164, v164, v2
	v_add_f32_e32 v2, v172, v158
	;; [unrolled: 1-line block ×3, first 2 shown]
	v_dual_fmamk_f32 v172, v11, 0x3f62ad3f, v174 :: v_dual_add_f32 v61, v161, v61
	s_delay_alu instid0(VALU_DEP_4) | instskip(SKIP_1) | instid1(VALU_DEP_4)
	v_add_f32_e32 v164, v175, v164
	v_dual_add_f32 v158, v56, v173 :: v_dual_mul_f32 v173, 0xbf29c268, v147
	v_add_f32_e32 v60, v60, v4
	v_fma_f32 v161, 0xbeb58ec6, v153, -v162
	s_delay_alu instid0(VALU_DEP_3) | instskip(NEXT) | instid1(VALU_DEP_4)
	v_dual_add_f32 v159, v159, v61 :: v_dual_add_f32 v158, v172, v158
	v_fmamk_f32 v172, v14, 0xbf3f9e67, v173
	s_delay_alu instid0(VALU_DEP_4) | instskip(SKIP_2) | instid1(VALU_DEP_3)
	v_add_f32_e32 v60, v63, v60
	v_mul_f32_e32 v176, 0x3f52af12, v150
	v_dual_mul_f32 v175, 0x3df6dbef, v153 :: v_dual_mul_f32 v162, 0x3df6dbef, v68
	v_dual_add_f32 v158, v172, v158 :: v_dual_add_f32 v61, v161, v60
	v_dual_add_f32 v60, v167, v159 :: v_dual_mul_f32 v161, 0xbf788fa5, v142
	v_mul_f32_e32 v159, 0xbf6f5d39, v143
	v_fmac_f32_e32 v168, 0xbeb58ec6, v17
	v_fmac_f32_e32 v169, 0xbf29c268, v9
	v_add_f32_e32 v67, v56, v67
	v_add_f32_e32 v117, v117, v57
	v_fmamk_f32 v167, v10, 0xbeb58ec6, v159
	v_fmamk_f32 v172, v15, 0x3f116cb1, v176
	s_delay_alu instid0(VALU_DEP_4) | instskip(NEXT) | instid1(VALU_DEP_4)
	v_dual_add_f32 v60, v168, v60 :: v_dual_add_f32 v67, v146, v67
	v_dual_mul_f32 v189, 0x3eedf032, v156 :: v_dual_add_f32 v78, v78, v117
	s_delay_alu instid0(VALU_DEP_4) | instskip(NEXT) | instid1(VALU_DEP_4)
	v_add_f32_e32 v167, v56, v167
	v_dual_fmamk_f32 v177, v6, 0xbf7e222b, v175 :: v_dual_add_f32 v158, v172, v158
	v_mul_f32_e32 v172, 0x3f7e222b, v156
	v_mul_f32_e32 v146, 0xbf788fa5, v77
	v_fmac_f32_e32 v157, 0xbf3f9e67, v17
	s_delay_alu instid0(VALU_DEP_4)
	v_dual_add_f32 v5, v177, v164 :: v_dual_fmamk_f32 v164, v16, 0xbeb58ec6, v179
	v_mul_f32_e32 v177, 0x3f29c268, v144
	v_fmac_f32_e32 v152, 0x3f62ad3f, v15
	v_fmac_f32_e32 v155, 0x3f116cb1, v16
	v_add_f32_e32 v117, v56, v127
	v_add_f32_e32 v62, v164, v158
	v_mul_f32_e32 v164, 0xbeb58ec6, v128
	v_fmamk_f32 v168, v11, 0xbf3f9e67, v177
	v_fmamk_f32 v158, v17, 0x3df6dbef, v172
	v_dual_add_f32 v73, v73, v78 :: v_dual_add_f32 v58, v58, v117
	s_delay_alu instid0(VALU_DEP_2) | instskip(SKIP_2) | instid1(VALU_DEP_4)
	v_add_f32_e32 v4, v158, v62
	v_fmamk_f32 v62, v13, 0x3f6f5d39, v164
	v_mul_f32_e32 v158, 0xbf3f9e67, v76
	v_add_f32_e32 v58, v59, v58
	s_delay_alu instid0(VALU_DEP_3) | instskip(NEXT) | instid1(VALU_DEP_3)
	v_dual_add_f32 v71, v71, v73 :: v_dual_add_f32 v62, v57, v62
	v_fmamk_f32 v63, v12, 0xbf29c268, v158
	s_delay_alu instid0(VALU_DEP_2) | instskip(NEXT) | instid1(VALU_DEP_2)
	v_dual_add_f32 v58, v72, v58 :: v_dual_add_f32 v71, v118, v71
	v_dual_add_f32 v62, v63, v62 :: v_dual_fmamk_f32 v63, v9, 0xbeedf032, v160
	s_delay_alu instid0(VALU_DEP_2) | instskip(NEXT) | instid1(VALU_DEP_2)
	v_add_f32_e32 v58, v79, v58
	v_dual_add_f32 v62, v63, v62 :: v_dual_fmamk_f32 v63, v8, 0x3f7e222b, v162
	s_delay_alu instid0(VALU_DEP_2) | instskip(NEXT) | instid1(VALU_DEP_2)
	v_add_f32_e32 v58, v140, v58
	v_add_f32_e32 v62, v63, v62
	s_delay_alu instid0(VALU_DEP_2) | instskip(NEXT) | instid1(VALU_DEP_1)
	v_dual_fmamk_f32 v63, v7, 0xbe750f2a, v161 :: v_dual_add_f32 v58, v141, v58
	v_dual_fmac_f32 v161, 0x3e750f2a, v7 :: v_dual_add_f32 v62, v63, v62
	v_fma_f32 v63, 0x3df6dbef, v128, -v129
	v_dual_add_f32 v129, v168, v167 :: v_dual_mul_f32 v168, 0xbf7e222b, v150
	s_delay_alu instid0(VALU_DEP_4) | instskip(NEXT) | instid1(VALU_DEP_3)
	v_add_f32_e32 v58, v64, v58
	v_add_f32_e32 v182, v57, v63
	;; [unrolled: 1-line block ×3, first 2 shown]
	s_delay_alu instid0(VALU_DEP_3) | instskip(NEXT) | instid1(VALU_DEP_3)
	v_add_f32_e32 v19, v19, v58
	v_dual_fmac_f32 v165, 0x3f52af12, v8 :: v_dual_add_f32 v62, v74, v182
	v_fma_f32 v74, 0xbeb58ec6, v77, -v75
	v_mul_f32_e32 v182, 0xbe750f2a, v147
	v_mul_f32_e32 v77, 0x3df6dbef, v77
	;; [unrolled: 1-line block ×3, first 2 shown]
	s_delay_alu instid0(VALU_DEP_4) | instskip(NEXT) | instid1(VALU_DEP_1)
	v_add_f32_e32 v62, v74, v62
	v_add_f32_e32 v65, v65, v62
	s_delay_alu instid0(VALU_DEP_1) | instskip(SKIP_1) | instid1(VALU_DEP_1)
	v_add_f32_e32 v65, v66, v65
	v_dual_fmamk_f32 v167, v14, 0x3f62ad3f, v178 :: v_dual_add_f32 v66, v148, v67
	v_add_f32_e32 v129, v167, v129
	s_delay_alu instid0(VALU_DEP_2) | instskip(NEXT) | instid1(VALU_DEP_4)
	v_dual_fmamk_f32 v167, v15, 0x3df6dbef, v168 :: v_dual_add_f32 v148, v152, v66
	v_dual_add_f32 v66, v145, v65 :: v_dual_mul_f32 v145, 0xbf52af12, v143
	v_mul_f32_e32 v143, 0xbeedf032, v143
	s_delay_alu instid0(VALU_DEP_3)
	v_add_f32_e32 v75, v167, v129
	v_fmamk_f32 v129, v16, 0xbf788fa5, v183
	v_mul_f32_e32 v167, 0x3f52af12, v156
	v_add_f32_e32 v65, v155, v148
	v_fmamk_f32 v155, v10, 0x3f116cb1, v145
	v_mul_f32_e32 v152, 0xbf3f9e67, v68
	;; [unrolled: 3-line block ×3, first 2 shown]
	v_dual_add_f32 v155, v56, v155 :: v_dual_mul_f32 v128, 0x3f62ad3f, v128
	s_delay_alu instid0(VALU_DEP_3) | instskip(SKIP_2) | instid1(VALU_DEP_4)
	v_dual_add_f32 v65, v157, v65 :: v_dual_add_f32 v62, v75, v74
	v_mul_f32_e32 v75, 0xbeb58ec6, v76
	v_mul_f32_e32 v76, 0x3f116cb1, v76
	v_fmamk_f32 v186, v13, 0x3eedf032, v128
	v_fmamk_f32 v74, v13, 0x3f52af12, v129
	v_mul_f32_e32 v181, 0xbf6f5d39, v144
	v_fmac_f32_e32 v129, 0xbf52af12, v13
	v_fmamk_f32 v188, v12, 0x3f52af12, v76
	v_add_f32_e32 v186, v57, v186
	v_add_f32_e32 v67, v57, v74
	s_delay_alu instid0(VALU_DEP_2) | instskip(NEXT) | instid1(VALU_DEP_1)
	v_dual_fmamk_f32 v157, v11, 0xbeb58ec6, v181 :: v_dual_add_f32 v186, v188, v186
	v_dual_fmamk_f32 v74, v12, 0x3f6f5d39, v75 :: v_dual_add_f32 v155, v157, v155
	v_fmamk_f32 v188, v9, 0x3f7e222b, v77
	v_fmamk_f32 v157, v14, 0xbf788fa5, v182
	v_fmac_f32_e32 v75, 0xbf6f5d39, v12
	s_delay_alu instid0(VALU_DEP_4) | instskip(SKIP_1) | instid1(VALU_DEP_4)
	v_dual_add_f32 v67, v74, v67 :: v_dual_fmamk_f32 v74, v9, 0x3e750f2a, v146
	v_fmac_f32_e32 v77, 0xbf7e222b, v9
	v_add_f32_e32 v155, v157, v155
	v_fmamk_f32 v157, v15, 0xbf3f9e67, v184
	s_delay_alu instid0(VALU_DEP_4) | instskip(NEXT) | instid1(VALU_DEP_1)
	v_dual_add_f32 v67, v74, v67 :: v_dual_fmamk_f32 v74, v8, 0xbf29c268, v152
	v_dual_fmac_f32 v152, 0x3f29c268, v8 :: v_dual_add_f32 v67, v74, v67
	v_mul_f32_e32 v148, 0x3df6dbef, v142
	s_delay_alu instid0(VALU_DEP_4) | instskip(SKIP_2) | instid1(VALU_DEP_4)
	v_dual_mul_f32 v142, 0xbf3f9e67, v142 :: v_dual_add_f32 v155, v157, v155
	v_fmamk_f32 v157, v16, 0x3df6dbef, v187
	v_fmac_f32_e32 v146, 0xbe750f2a, v9
	v_fmamk_f32 v74, v7, 0xbf7e222b, v148
	s_delay_alu instid0(VALU_DEP_4)
	v_fmamk_f32 v127, v7, 0x3f29c268, v142
	v_fmac_f32_e32 v142, 0xbf29c268, v7
	v_add_f32_e32 v155, v157, v155
	v_fmamk_f32 v157, v17, 0x3f62ad3f, v189
	v_dual_add_f32 v67, v74, v67 :: v_dual_mul_f32 v74, 0x3f62ad3f, v153
	v_fmac_f32_e32 v128, 0xbeedf032, v13
	v_fmac_f32_e32 v148, 0x3f7e222b, v7
	s_delay_alu instid0(VALU_DEP_3) | instskip(SKIP_1) | instid1(VALU_DEP_2)
	v_fmamk_f32 v185, v6, 0xbeedf032, v74
	v_fmac_f32_e32 v74, 0x3eedf032, v6
	v_add_f32_e32 v68, v185, v67
	v_add_f32_e32 v67, v157, v155
	v_fmamk_f32 v157, v10, 0x3f62ad3f, v143
	v_add_f32_e32 v185, v188, v186
	s_delay_alu instid0(VALU_DEP_2) | instskip(SKIP_2) | instid1(VALU_DEP_2)
	v_add_f32_e32 v117, v56, v157
	v_fmamk_f32 v186, v8, 0x3f6f5d39, v190
	v_mul_f32_e32 v144, 0xbf52af12, v144
	v_dual_fmac_f32 v190, 0xbf6f5d39, v8 :: v_dual_add_f32 v155, v186, v185
	v_fmac_f32_e32 v76, 0xbf52af12, v12
	s_delay_alu instid0(VALU_DEP_2) | instskip(NEXT) | instid1(VALU_DEP_4)
	v_add_f32_e32 v78, v127, v155
	v_fmamk_f32 v127, v11, 0x3f116cb1, v144
	s_delay_alu instid0(VALU_DEP_1) | instskip(SKIP_1) | instid1(VALU_DEP_1)
	v_add_f32_e32 v59, v127, v117
	v_mul_f32_e32 v117, 0xbf6f5d39, v150
	v_fmamk_f32 v79, v15, 0xbeb58ec6, v117
	v_mul_f32_e32 v73, 0xbf7e222b, v147
	v_mul_f32_e32 v147, 0xbf788fa5, v153
	s_delay_alu instid0(VALU_DEP_2) | instskip(NEXT) | instid1(VALU_DEP_2)
	v_fmamk_f32 v72, v14, 0x3df6dbef, v73
	v_fmamk_f32 v118, v6, 0x3e750f2a, v147
	s_delay_alu instid0(VALU_DEP_2) | instskip(NEXT) | instid1(VALU_DEP_2)
	v_dual_fmac_f32 v147, 0xbe750f2a, v6 :: v_dual_add_f32 v72, v72, v59
	v_dual_add_f32 v59, v118, v78 :: v_dual_mul_f32 v118, 0xbe750f2a, v156
	v_dual_mul_f32 v78, 0xbf29c268, v154 :: v_dual_add_f32 v71, v151, v71
	s_delay_alu instid0(VALU_DEP_1) | instskip(NEXT) | instid1(VALU_DEP_2)
	v_dual_add_f32 v72, v79, v72 :: v_dual_fmamk_f32 v79, v16, 0xbf3f9e67, v78
	v_add_f32_e32 v71, v149, v71
	v_fmac_f32_e32 v163, 0xbe750f2a, v13
	s_delay_alu instid0(VALU_DEP_2) | instskip(NEXT) | instid1(VALU_DEP_1)
	v_add_f32_e32 v69, v69, v71
	v_dual_add_f32 v69, v70, v69 :: v_dual_add_f32 v70, v79, v72
	s_delay_alu instid0(VALU_DEP_3) | instskip(SKIP_1) | instid1(VALU_DEP_3)
	v_add_f32_e32 v71, v57, v163
	v_fma_f32 v72, 0xbeb58ec6, v11, -v181
	v_add_f32_e32 v18, v18, v69
	v_fma_f32 v69, 0xbf788fa5, v10, -v170
	s_delay_alu instid0(VALU_DEP_4) | instskip(NEXT) | instid1(VALU_DEP_3)
	v_dual_add_f32 v64, v166, v71 :: v_dual_fmamk_f32 v71, v17, 0xbf788fa5, v118
	v_add_f32_e32 v18, v20, v18
	v_add_f32_e32 v20, v21, v19
	s_delay_alu instid0(VALU_DEP_3) | instskip(NEXT) | instid1(VALU_DEP_2)
	v_dual_add_f32 v64, v169, v64 :: v_dual_fmac_f32 v171, 0xbf6f5d39, v7
	v_dual_add_f32 v19, v22, v18 :: v_dual_add_f32 v18, v23, v20
	s_delay_alu instid0(VALU_DEP_2) | instskip(SKIP_2) | instid1(VALU_DEP_4)
	v_dual_add_f32 v21, v165, v64 :: v_dual_add_f32 v64, v56, v69
	v_fma_f32 v69, 0x3f62ad3f, v11, -v174
	v_fma_f32 v23, 0xbf3f9e67, v14, -v173
	v_add_f32_e32 v18, v126, v18
	s_delay_alu instid0(VALU_DEP_4) | instskip(SKIP_4) | instid1(VALU_DEP_4)
	v_add_f32_e32 v20, v171, v21
	v_fmac_f32_e32 v164, 0xbf6f5d39, v13
	v_dual_fmac_f32 v175, 0x3f7e222b, v6 :: v_dual_add_f32 v22, v69, v64
	v_fma_f32 v69, 0xbf3f9e67, v11, -v177
	v_add_f32_e32 v58, v71, v70
	v_add_f32_e32 v64, v57, v164
	s_delay_alu instid0(VALU_DEP_4) | instskip(SKIP_4) | instid1(VALU_DEP_4)
	v_add_f32_e32 v21, v175, v20
	v_fma_f32 v20, 0xbeb58ec6, v10, -v159
	v_fma_f32 v70, 0x3df6dbef, v15, -v168
	v_fma_f32 v11, 0x3f116cb1, v11, -v144
	v_fma_f32 v71, 0x3f116cb1, v17, -v167
	v_add_f32_e32 v20, v56, v20
	s_delay_alu instid0(VALU_DEP_1) | instskip(SKIP_3) | instid1(VALU_DEP_3)
	v_add_f32_e32 v20, v69, v20
	v_fma_f32 v69, 0x3f62ad3f, v14, -v178
	v_add_f32_e32 v22, v23, v22
	v_fma_f32 v23, 0x3f116cb1, v15, -v176
	v_add_f32_e32 v69, v69, v20
	v_fmac_f32_e32 v158, 0x3f29c268, v12
	s_delay_alu instid0(VALU_DEP_3) | instskip(SKIP_4) | instid1(VALU_DEP_4)
	v_add_f32_e32 v22, v23, v22
	v_fma_f32 v23, 0xbeb58ec6, v16, -v179
	v_fma_f32 v12, 0xbf3f9e67, v15, -v184
	v_fmac_f32_e32 v180, 0x3f52af12, v6
	v_fmac_f32_e32 v160, 0x3eedf032, v9
	v_add_f32_e32 v22, v23, v22
	v_fma_f32 v23, 0x3df6dbef, v17, -v172
	s_delay_alu instid0(VALU_DEP_1) | instskip(SKIP_4) | instid1(VALU_DEP_4)
	v_dual_add_f32 v20, v23, v22 :: v_dual_add_f32 v23, v70, v69
	v_dual_add_f32 v64, v158, v64 :: v_dual_add_f32 v69, v57, v129
	v_fma_f32 v70, 0x3f116cb1, v10, -v145
	v_fma_f32 v10, 0x3f62ad3f, v10, -v143
	v_add_f32_e32 v57, v57, v128
	v_dual_add_f32 v64, v160, v64 :: v_dual_add_f32 v69, v75, v69
	s_delay_alu instid0(VALU_DEP_4) | instskip(NEXT) | instid1(VALU_DEP_4)
	v_add_f32_e32 v70, v56, v70
	v_add_f32_e32 v10, v56, v10
	s_delay_alu instid0(VALU_DEP_4) | instskip(NEXT) | instid1(VALU_DEP_4)
	v_add_f32_e32 v56, v76, v57
	v_dual_add_f32 v69, v146, v69 :: v_dual_fmac_f32 v162, 0xbf7e222b, v8
	s_delay_alu instid0(VALU_DEP_3) | instskip(SKIP_1) | instid1(VALU_DEP_3)
	v_add_f32_e32 v10, v11, v10
	v_fma_f32 v11, 0x3df6dbef, v14, -v73
	v_dual_add_f32 v13, v152, v69 :: v_dual_add_f32 v22, v162, v64
	v_fma_f32 v64, 0xbf788fa5, v16, -v183
	s_delay_alu instid0(VALU_DEP_3) | instskip(SKIP_1) | instid1(VALU_DEP_4)
	v_add_f32_e32 v8, v11, v10
	v_fma_f32 v10, 0xbeb58ec6, v15, -v117
	v_dual_add_f32 v13, v148, v13 :: v_dual_add_f32 v22, v161, v22
	s_delay_alu instid0(VALU_DEP_2) | instskip(SKIP_1) | instid1(VALU_DEP_2)
	v_dual_add_f32 v64, v64, v23 :: v_dual_add_f32 v7, v10, v8
	v_fma_f32 v8, 0xbf3f9e67, v16, -v78
	v_dual_add_f32 v23, v180, v22 :: v_dual_add_f32 v22, v71, v64
	v_add_f32_e32 v64, v72, v70
	v_fma_f32 v70, 0xbf788fa5, v14, -v182
	s_delay_alu instid0(VALU_DEP_4) | instskip(SKIP_2) | instid1(VALU_DEP_4)
	v_dual_add_f32 v8, v8, v7 :: v_dual_add_f32 v7, v74, v13
	v_add_f32_e32 v14, v77, v56
	v_fma_f32 v10, 0x3f62ad3f, v17, -v189
	v_add_f32_e32 v64, v70, v64
	s_delay_alu instid0(VALU_DEP_3) | instskip(SKIP_1) | instid1(VALU_DEP_3)
	v_add_f32_e32 v11, v190, v14
	v_fma_f32 v14, 0xbf788fa5, v17, -v118
	v_add_f32_e32 v9, v12, v64
	v_fma_f32 v12, 0x3df6dbef, v16, -v187
	s_delay_alu instid0(VALU_DEP_4) | instskip(NEXT) | instid1(VALU_DEP_2)
	v_add_f32_e32 v11, v142, v11
	v_dual_add_f32 v8, v14, v8 :: v_dual_add_f32 v9, v12, v9
	v_mul_u32_u24_e32 v12, 52, v123
	s_delay_alu instid0(VALU_DEP_2) | instskip(NEXT) | instid1(VALU_DEP_2)
	v_add_f32_e32 v6, v10, v9
	v_or_b32_e32 v12, v12, v122
	v_add_f32_e32 v9, v147, v11
	s_delay_alu instid0(VALU_DEP_2)
	v_lshl_add_u32 v12, v12, 3, v121
	ds_store_2addr_b64 v12, v[18:19], v[58:59] offset1:4
	ds_store_2addr_b64 v12, v[67:68], v[65:66] offset0:8 offset1:12
	ds_store_2addr_b64 v12, v[62:63], v[60:61] offset0:16 offset1:20
	;; [unrolled: 1-line block ×5, first 2 shown]
	ds_store_b64 v12, v[8:9] offset:384
.LBB0_9:
	s_wait_alu 0xfffe
	s_or_b32 exec_lo, exec_lo, s0
	v_add_nc_u32_e32 v3, 0xc00, v120
	global_wb scope:SCOPE_SE
	s_wait_dscnt 0x0
	s_barrier_signal -1
	s_barrier_wait -1
	global_inv scope:SCOPE_SE
	ds_load_2addr_b64 v[4:7], v3 offset0:84 offset1:162
	v_add_nc_u32_e32 v2, 0x1000, v120
	v_add_nc_u32_e32 v0, 0x1800, v120
	;; [unrolled: 1-line block ×3, first 2 shown]
	s_mov_b32 s0, 0x11811812
	s_mov_b32 s1, 0x3f518118
	s_wait_dscnt 0x0
	v_mul_f32_e32 v62, v112, v7
	v_mul_f32_e32 v63, v112, v6
	ds_load_2addr_b64 v[8:11], v2 offset0:112 offset1:190
	ds_load_2addr_b64 v[12:15], v0 offset0:12 offset1:90
	ds_load_2addr_b64 v[16:19], v120 offset1:78
	ds_load_2addr_b64 v[20:23], v120 offset0:156 offset1:234
	ds_load_2addr_b64 v[56:59], v1 offset0:56 offset1:134
	v_mul_f32_e32 v60, v106, v5
	v_mul_f32_e32 v61, v106, v4
	global_wb scope:SCOPE_SE
	s_wait_dscnt 0x0
	s_barrier_signal -1
	s_barrier_wait -1
	global_inv scope:SCOPE_SE
	v_fmac_f32_e32 v62, v111, v6
	v_mul_f32_e32 v66, v116, v11
	v_dual_mul_f32 v64, v114, v9 :: v_dual_mul_f32 v71, v108, v14
	v_dual_mul_f32 v65, v114, v8 :: v_dual_mul_f32 v70, v108, v15
	v_mul_f32_e32 v67, v116, v10
	v_mul_f32_e32 v69, v110, v12
	v_fma_f32 v5, v105, v5, -v61
	v_fma_f32 v61, v111, v7, -v63
	v_fmac_f32_e32 v60, v105, v4
	v_fma_f32 v63, v113, v9, -v65
	v_mul_f32_e32 v68, v110, v13
	v_fma_f32 v65, v115, v11, -v67
	v_fmac_f32_e32 v64, v113, v8
	v_dual_fmac_f32 v66, v115, v10 :: v_dual_sub_f32 v5, v17, v5
	v_fma_f32 v67, v107, v15, -v71
	v_dual_sub_f32 v9, v19, v61 :: v_dual_sub_f32 v4, v16, v60
	v_fma_f32 v60, v109, v13, -v69
	v_sub_f32_e32 v11, v21, v63
	s_delay_alu instid0(VALU_DEP_4)
	v_dual_fmac_f32 v68, v109, v12 :: v_dual_sub_f32 v61, v59, v67
	v_dual_sub_f32 v15, v23, v65 :: v_dual_sub_f32 v10, v20, v64
	v_fmac_f32_e32 v70, v107, v14
	v_sub_f32_e32 v8, v18, v62
	v_sub_f32_e32 v14, v22, v66
	v_fma_f32 v6, v16, 2.0, -v4
	v_fma_f32 v7, v17, 2.0, -v5
	;; [unrolled: 1-line block ×4, first 2 shown]
	v_sub_f32_e32 v20, v56, v68
	v_dual_sub_f32 v21, v57, v60 :: v_dual_sub_f32 v60, v58, v70
	v_fma_f32 v12, v18, 2.0, -v8
	v_fma_f32 v13, v19, 2.0, -v9
	;; [unrolled: 1-line block ×8, first 2 shown]
	ds_store_2addr_b64 v131, v[6:7], v[4:5] offset1:52
	ds_store_2addr_b64 v138, v[12:13], v[8:9] offset1:52
	;; [unrolled: 1-line block ×6, first 2 shown]
	global_wb scope:SCOPE_SE
	s_wait_dscnt 0x0
	s_barrier_signal -1
	s_barrier_wait -1
	global_inv scope:SCOPE_SE
	ds_load_2addr_b64 v[4:7], v1 offset0:56 offset1:134
	ds_load_2addr_b64 v[8:11], v2 offset0:112 offset1:190
	;; [unrolled: 1-line block ×4, first 2 shown]
	ds_load_2addr_b64 v[20:23], v120 offset1:78
	ds_load_2addr_b64 v[56:59], v120 offset0:156 offset1:234
	global_wb scope:SCOPE_SE
	s_wait_dscnt 0x0
	s_barrier_signal -1
	s_barrier_wait -1
	global_inv scope:SCOPE_SE
	v_mul_f32_e32 v61, v39, v9
	v_mul_f32_e32 v60, v37, v5
	;; [unrolled: 1-line block ×3, first 2 shown]
	s_delay_alu instid0(VALU_DEP_3) | instskip(NEXT) | instid1(VALU_DEP_3)
	v_fmac_f32_e32 v61, v38, v8
	v_fmac_f32_e32 v60, v36, v4
	v_mul_f32_e32 v4, v39, v8
	s_delay_alu instid0(VALU_DEP_4) | instskip(SKIP_2) | instid1(VALU_DEP_4)
	v_fma_f32 v5, v36, v5, -v37
	v_mul_f32_e32 v36, v33, v7
	v_dual_mul_f32 v8, v33, v6 :: v_dual_mul_f32 v33, v35, v11
	v_fma_f32 v9, v38, v9, -v4
	v_dual_mul_f32 v4, v35, v10 :: v_dual_mul_f32 v35, v29, v13
	s_delay_alu instid0(VALU_DEP_3) | instskip(NEXT) | instid1(VALU_DEP_2)
	v_fmac_f32_e32 v33, v34, v10
	v_fma_f32 v11, v34, v11, -v4
	s_delay_alu instid0(VALU_DEP_3) | instskip(SKIP_4) | instid1(VALU_DEP_3)
	v_fmac_f32_e32 v35, v28, v12
	v_fmac_f32_e32 v36, v32, v6
	v_dual_mul_f32 v6, v29, v12 :: v_dual_mul_f32 v29, v31, v17
	v_dual_mul_f32 v4, v31, v16 :: v_dual_mul_f32 v31, v25, v15
	v_sub_f32_e32 v12, v60, v61
	v_fma_f32 v28, v28, v13, -v6
	s_delay_alu instid0(VALU_DEP_4)
	v_dual_mul_f32 v6, v25, v14 :: v_dual_fmac_f32 v29, v30, v16
	v_fma_f32 v32, v32, v7, -v8
	v_fma_f32 v17, v30, v17, -v4
	v_mul_f32_e32 v25, v27, v19
	v_fmac_f32_e32 v31, v24, v14
	v_mul_f32_e32 v4, v27, v18
	v_fma_f32 v24, v24, v15, -v6
	v_dual_add_f32 v6, v60, v61 :: v_dual_add_f32 v13, v22, v36
	v_dual_add_f32 v7, v20, v60 :: v_dual_add_f32 v8, v5, v9
	v_fmac_f32_e32 v25, v26, v18
	v_fma_f32 v26, v26, v19, -v4
	s_delay_alu instid0(VALU_DEP_4) | instskip(SKIP_4) | instid1(VALU_DEP_4)
	v_fma_f32 v4, -0.5, v6, v20
	v_sub_f32_e32 v10, v5, v9
	v_add_f32_e32 v6, v7, v61
	v_add_f32_e32 v7, v21, v5
	v_fma_f32 v5, -0.5, v8, v21
	v_dual_sub_f32 v15, v36, v33 :: v_dual_fmamk_f32 v8, v10, 0xbf5db3d7, v4
	s_delay_alu instid0(VALU_DEP_3) | instskip(SKIP_1) | instid1(VALU_DEP_4)
	v_dual_fmac_f32 v4, 0x3f5db3d7, v10 :: v_dual_add_f32 v7, v7, v9
	v_add_f32_e32 v10, v36, v33
	v_fmamk_f32 v9, v12, 0x3f5db3d7, v5
	v_dual_fmac_f32 v5, 0xbf5db3d7, v12 :: v_dual_add_f32 v12, v32, v11
	v_sub_f32_e32 v21, v35, v29
	s_delay_alu instid0(VALU_DEP_4) | instskip(SKIP_3) | instid1(VALU_DEP_3)
	v_fma_f32 v22, -0.5, v10, v22
	v_sub_f32_e32 v14, v32, v11
	v_dual_add_f32 v10, v13, v33 :: v_dual_add_f32 v13, v23, v32
	v_fmac_f32_e32 v23, -0.5, v12
	v_dual_sub_f32 v19, v28, v17 :: v_dual_fmamk_f32 v12, v14, 0xbf5db3d7, v22
	s_delay_alu instid0(VALU_DEP_3) | instskip(SKIP_1) | instid1(VALU_DEP_4)
	v_dual_fmac_f32 v22, 0x3f5db3d7, v14 :: v_dual_add_f32 v11, v13, v11
	v_dual_add_f32 v14, v35, v29 :: v_dual_add_f32 v27, v58, v31
	v_fmamk_f32 v13, v15, 0x3f5db3d7, v23
	v_fmac_f32_e32 v23, 0xbf5db3d7, v15
	v_add_f32_e32 v15, v28, v17
	s_delay_alu instid0(VALU_DEP_4)
	v_fma_f32 v14, -0.5, v14, v56
	v_sub_f32_e32 v30, v31, v25
	ds_store_2addr_b64 v120, v[6:7], v[8:9] offset1:104
	ds_store_b64 v120, v[4:5] offset:1664
	v_add_nc_u32_e32 v4, 0x1000, v130
	v_fma_f32 v15, -0.5, v15, v57
	v_add_f32_e32 v16, v56, v35
	v_fmamk_f32 v18, v19, 0xbf5db3d7, v14
	s_delay_alu instid0(VALU_DEP_3) | instskip(SKIP_3) | instid1(VALU_DEP_2)
	v_dual_fmac_f32 v14, 0x3f5db3d7, v19 :: v_dual_fmamk_f32 v19, v21, 0x3f5db3d7, v15
	v_fmac_f32_e32 v15, 0xbf5db3d7, v21
	v_dual_add_f32 v21, v24, v26 :: v_dual_add_f32 v20, v57, v28
	v_dual_add_f32 v16, v16, v29 :: v_dual_add_f32 v29, v59, v24
	v_dual_sub_f32 v28, v24, v26 :: v_dual_fmac_f32 v59, -0.5, v21
	s_delay_alu instid0(VALU_DEP_3) | instskip(NEXT) | instid1(VALU_DEP_3)
	v_add_f32_e32 v17, v20, v17
	v_dual_add_f32 v20, v31, v25 :: v_dual_add_f32 v21, v29, v26
	s_delay_alu instid0(VALU_DEP_1) | instskip(NEXT) | instid1(VALU_DEP_4)
	v_fma_f32 v58, -0.5, v20, v58
	v_dual_add_f32 v20, v27, v25 :: v_dual_fmamk_f32 v25, v30, 0x3f5db3d7, v59
	s_delay_alu instid0(VALU_DEP_2)
	v_dual_fmac_f32 v59, 0xbf5db3d7, v30 :: v_dual_fmamk_f32 v24, v28, 0xbf5db3d7, v58
	v_fmac_f32_e32 v58, 0x3f5db3d7, v28
	ds_store_2addr_b64 v137, v[10:11], v[12:13] offset1:104
	ds_store_b64 v137, v[22:23] offset:1664
	ds_store_2addr_b64 v135, v[16:17], v[18:19] offset1:104
	ds_store_b64 v135, v[14:15] offset:1664
	ds_store_2addr_b64 v4, v[20:21], v[24:25] offset0:112 offset1:216
	ds_store_b64 v130, v[58:59] offset:6656
	global_wb scope:SCOPE_SE
	s_wait_dscnt 0x0
	s_barrier_signal -1
	s_barrier_wait -1
	global_inv scope:SCOPE_SE
	ds_load_2addr_b64 v[4:7], v1 offset0:56 offset1:134
	ds_load_2addr_b64 v[8:11], v2 offset0:112 offset1:190
	;; [unrolled: 1-line block ×4, first 2 shown]
	ds_load_2addr_b64 v[20:23], v120 offset1:78
	ds_load_2addr_b64 v[24:27], v120 offset0:156 offset1:234
	s_wait_dscnt 0x5
	v_mul_f32_e32 v29, v53, v4
	s_wait_dscnt 0x4
	v_dual_mul_f32 v31, v51, v11 :: v_dual_mul_f32 v28, v53, v5
	s_wait_dscnt 0x2
	v_mul_f32_e32 v37, v43, v19
	v_mul_f32_e32 v33, v45, v13
	s_delay_alu instid0(VALU_DEP_3) | instskip(SKIP_1) | instid1(VALU_DEP_4)
	v_dual_mul_f32 v30, v55, v9 :: v_dual_fmac_f32 v31, v50, v10
	v_fmac_f32_e32 v28, v52, v4
	v_dual_mul_f32 v4, v55, v8 :: v_dual_fmac_f32 v37, v42, v18
	v_fma_f32 v5, v52, v5, -v29
	v_mul_f32_e32 v29, v49, v7
	v_fmac_f32_e32 v33, v44, v12
	s_delay_alu instid0(VALU_DEP_4) | instskip(SKIP_4) | instid1(VALU_DEP_4)
	v_fma_f32 v9, v54, v9, -v4
	v_mul_f32_e32 v4, v51, v10
	v_fmac_f32_e32 v30, v54, v8
	v_mul_f32_e32 v8, v49, v6
	v_dual_fmac_f32 v29, v48, v6 :: v_dual_mul_f32 v6, v45, v12
	v_fma_f32 v11, v50, v11, -v4
	v_mul_f32_e32 v4, v47, v16
	v_mul_f32_e32 v34, v47, v17
	v_fma_f32 v32, v48, v7, -v8
	v_fma_f32 v35, v44, v13, -v6
	s_wait_dscnt 0x1
	v_dual_mul_f32 v6, v41, v14 :: v_dual_add_f32 v13, v22, v29
	v_fma_f32 v17, v46, v17, -v4
	v_dual_mul_f32 v4, v43, v18 :: v_dual_add_f32 v7, v20, v28
	s_delay_alu instid0(VALU_DEP_3) | instskip(SKIP_2) | instid1(VALU_DEP_4)
	v_fma_f32 v38, v40, v15, -v6
	v_add_f32_e32 v6, v28, v30
	v_mul_f32_e32 v36, v41, v15
	v_fma_f32 v39, v42, v19, -v4
	v_add_f32_e32 v8, v5, v9
	v_sub_f32_e32 v10, v5, v9
	v_fma_f32 v4, -0.5, v6, v20
	s_wait_dscnt 0x0
	v_add_f32_e32 v20, v25, v35
	v_dual_add_f32 v6, v7, v30 :: v_dual_add_f32 v7, v21, v5
	v_fma_f32 v5, -0.5, v8, v21
	v_sub_f32_e32 v12, v28, v30
	v_dual_fmamk_f32 v8, v10, 0xbf5db3d7, v4 :: v_dual_sub_f32 v19, v35, v17
	s_delay_alu instid0(VALU_DEP_4) | instskip(SKIP_1) | instid1(VALU_DEP_4)
	v_add_f32_e32 v7, v7, v9
	v_sub_f32_e32 v15, v29, v31
	v_fmamk_f32 v9, v12, 0x3f5db3d7, v5
	v_fmac_f32_e32 v5, 0xbf5db3d7, v12
	v_fmac_f32_e32 v34, v46, v16
	v_add_f32_e32 v12, v32, v11
	v_add_f32_e32 v28, v27, v38
	s_delay_alu instid0(VALU_DEP_3) | instskip(SKIP_2) | instid1(VALU_DEP_3)
	v_dual_add_f32 v16, v24, v33 :: v_dual_sub_f32 v21, v33, v34
	v_fmac_f32_e32 v4, 0x3f5db3d7, v10
	v_add_f32_e32 v10, v29, v31
	v_add_f32_e32 v16, v16, v34
	s_delay_alu instid0(VALU_DEP_2) | instskip(SKIP_3) | instid1(VALU_DEP_3)
	v_fma_f32 v22, -0.5, v10, v22
	v_dual_add_f32 v10, v13, v31 :: v_dual_add_f32 v13, v23, v32
	v_fmac_f32_e32 v36, v40, v14
	v_dual_sub_f32 v14, v32, v11 :: v_dual_fmac_f32 v23, -0.5, v12
	v_add_f32_e32 v11, v13, v11
	s_delay_alu instid0(VALU_DEP_2) | instskip(SKIP_1) | instid1(VALU_DEP_4)
	v_dual_sub_f32 v29, v36, v37 :: v_dual_fmamk_f32 v12, v14, 0xbf5db3d7, v22
	v_fmac_f32_e32 v22, 0x3f5db3d7, v14
	v_dual_add_f32 v14, v33, v34 :: v_dual_fmamk_f32 v13, v15, 0x3f5db3d7, v23
	v_fmac_f32_e32 v23, 0xbf5db3d7, v15
	v_add_f32_e32 v15, v35, v17
	v_add_f32_e32 v17, v20, v17
	s_delay_alu instid0(VALU_DEP_4) | instskip(SKIP_3) | instid1(VALU_DEP_4)
	v_fma_f32 v14, -0.5, v14, v24
	v_add_f32_e32 v20, v36, v37
	v_add_f32_e32 v24, v26, v36
	v_fma_f32 v15, -0.5, v15, v25
	v_dual_sub_f32 v25, v38, v39 :: v_dual_fmamk_f32 v18, v19, 0xbf5db3d7, v14
	v_fmac_f32_e32 v14, 0x3f5db3d7, v19
	v_fma_f32 v26, -0.5, v20, v26
	s_delay_alu instid0(VALU_DEP_4) | instskip(SKIP_2) | instid1(VALU_DEP_4)
	v_fmamk_f32 v19, v21, 0x3f5db3d7, v15
	v_fmac_f32_e32 v15, 0xbf5db3d7, v21
	v_dual_add_f32 v21, v38, v39 :: v_dual_add_f32 v20, v24, v37
	v_fmamk_f32 v24, v25, 0xbf5db3d7, v26
	v_fmac_f32_e32 v26, 0x3f5db3d7, v25
	s_delay_alu instid0(VALU_DEP_3) | instskip(SKIP_1) | instid1(VALU_DEP_2)
	v_fmac_f32_e32 v27, -0.5, v21
	v_add_f32_e32 v21, v28, v39
	v_fmamk_f32 v25, v29, 0x3f5db3d7, v27
	v_fmac_f32_e32 v27, 0xbf5db3d7, v29
	ds_store_b64 v120, v[6:7]
	ds_store_b64 v120, v[8:9] offset:2496
	ds_store_b64 v139, v[4:5] offset:4992
	;; [unrolled: 1-line block ×5, first 2 shown]
	ds_store_2addr_b64 v120, v[16:17], v[20:21] offset0:156 offset1:234
	ds_store_b64 v125, v[18:19] offset:2496
	ds_store_b64 v125, v[14:15] offset:4992
	;; [unrolled: 1-line block ×4, first 2 shown]
	global_wb scope:SCOPE_SE
	s_wait_dscnt 0x0
	s_barrier_signal -1
	s_barrier_wait -1
	global_inv scope:SCOPE_SE
	ds_load_2addr_b64 v[4:7], v120 offset1:78
	v_mad_co_u64_u32 v[20:21], null, s6, v88, 0
	v_mad_co_u64_u32 v[22:23], null, s4, v119, 0
	s_wait_dscnt 0x0
	v_mul_f32_e32 v8, v104, v5
	v_mul_f32_e32 v9, v104, v4
	s_delay_alu instid0(VALU_DEP_2) | instskip(NEXT) | instid1(VALU_DEP_2)
	v_fmac_f32_e32 v8, v103, v4
	v_fma_f32 v9, v103, v5, -v9
	s_delay_alu instid0(VALU_DEP_2) | instskip(NEXT) | instid1(VALU_DEP_2)
	v_cvt_f64_f32_e32 v[4:5], v8
	v_cvt_f64_f32_e32 v[12:13], v9
	ds_load_2addr_b64 v[8:11], v3 offset0:84 offset1:162
	s_wait_dscnt 0x0
	v_mul_f32_e32 v15, v102, v8
	v_mul_f32_e32 v14, v102, v9
	s_delay_alu instid0(VALU_DEP_1)
	v_fmac_f32_e32 v14, v101, v8
	s_wait_alu 0xfffe
	v_mul_f64_e32 v[3:4], s[0:1], v[4:5]
	v_fma_f32 v5, v101, v9, -v15
	v_mul_f64_e32 v[16:17], s[0:1], v[12:13]
	v_cvt_f64_f32_e32 v[8:9], v14
	ds_load_2addr_b64 v[12:15], v120 offset0:156 offset1:234
	v_cvt_f64_f32_e32 v[18:19], v5
	v_mov_b32_e32 v5, v21
	v_mov_b32_e32 v21, v23
	s_delay_alu instid0(VALU_DEP_2) | instskip(NEXT) | instid1(VALU_DEP_2)
	v_mad_co_u64_u32 v[23:24], null, s7, v88, v[5:6]
	v_mad_co_u64_u32 v[24:25], null, s5, v119, v[21:22]
	s_delay_alu instid0(VALU_DEP_2) | instskip(SKIP_1) | instid1(VALU_DEP_2)
	v_mov_b32_e32 v21, v23
	s_wait_dscnt 0x0
	v_dual_mov_b32 v23, v24 :: v_dual_mul_f32 v24, v85, v15
	v_mul_f32_e32 v39, v85, v14
	s_delay_alu instid0(VALU_DEP_3) | instskip(NEXT) | instid1(VALU_DEP_3)
	v_lshlrev_b64_e32 v[20:21], 3, v[20:21]
	v_lshlrev_b64_e32 v[22:23], 3, v[22:23]
	s_delay_alu instid0(VALU_DEP_4) | instskip(NEXT) | instid1(VALU_DEP_4)
	v_fmac_f32_e32 v24, v84, v14
	v_fma_f32 v39, v84, v15, -v39
	s_delay_alu instid0(VALU_DEP_2) | instskip(NEXT) | instid1(VALU_DEP_2)
	v_cvt_f64_f32_e32 v[14:15], v24
	v_cvt_f64_f32_e32 v[39:40], v39
	v_cvt_f32_f64_e32 v25, v[3:4]
	ds_load_2addr_b64 v[2:5], v2 offset0:112 offset1:190
	v_cvt_f32_f64_e32 v26, v[16:17]
	v_mul_f32_e32 v16, v94, v11
	v_mul_f64_e32 v[27:28], s[0:1], v[8:9]
	v_mul_f32_e32 v8, v100, v7
	v_mul_f64_e32 v[29:30], s[0:1], v[18:19]
	v_dual_mul_f32 v18, v81, v13 :: v_dual_mul_f32 v9, v100, v6
	v_mul_f32_e32 v17, v94, v10
	v_fmac_f32_e32 v16, v93, v10
	v_fmac_f32_e32 v8, v99, v6
	s_delay_alu instid0(VALU_DEP_4)
	v_fmac_f32_e32 v18, v80, v12
	v_fma_f32 v6, v99, v7, -v9
	v_fma_f32 v7, v93, v11, -v17
	v_cvt_f64_f32_e32 v[33:34], v16
	v_cvt_f64_f32_e32 v[10:11], v8
	;; [unrolled: 1-line block ×3, first 2 shown]
	ds_load_2addr_b64 v[16:19], v0 offset0:12 offset1:90
	v_cvt_f64_f32_e32 v[31:32], v6
	v_cvt_f64_f32_e32 v[35:36], v7
	ds_load_2addr_b64 v[6:9], v1 offset0:56 offset1:134
	v_mul_f32_e32 v0, v81, v12
	s_wait_dscnt 0x2
	v_mul_f32_e32 v12, v92, v3
	v_dual_mul_f32 v1, v92, v2 :: v_dual_mul_f32 v24, v90, v5
	v_mul_f32_e32 v41, v90, v4
	v_fma_f32 v0, v80, v13, -v0
	s_delay_alu instid0(VALU_DEP_4) | instskip(NEXT) | instid1(VALU_DEP_4)
	v_fmac_f32_e32 v12, v91, v2
	v_fma_f32 v13, v91, v3, -v1
	v_fmac_f32_e32 v24, v89, v4
	v_fma_f32 v41, v89, v5, -v41
	v_cvt_f64_f32_e32 v[0:1], v0
	v_cvt_f64_f32_e32 v[2:3], v12
	;; [unrolled: 1-line block ×4, first 2 shown]
	v_mul_f64_e32 v[14:15], s[0:1], v[14:15]
	s_wait_dscnt 0x1
	v_dual_mul_f32 v45, v83, v17 :: v_dual_mul_f32 v48, v98, v19
	s_wait_dscnt 0x0
	v_dual_mul_f32 v49, v98, v18 :: v_dual_mul_f32 v42, v87, v7
	v_mul_f32_e32 v43, v87, v6
	s_delay_alu instid0(VALU_DEP_3) | instskip(SKIP_4) | instid1(VALU_DEP_4)
	v_fmac_f32_e32 v45, v82, v16
	v_mul_f32_e32 v16, v83, v16
	v_mul_f32_e32 v24, v96, v9
	v_dual_mul_f32 v47, v96, v8 :: v_dual_fmac_f32 v42, v86, v6
	v_fma_f32 v43, v86, v7, -v43
	v_fma_f32 v16, v82, v17, -v16
	s_delay_alu instid0(VALU_DEP_4) | instskip(NEXT) | instid1(VALU_DEP_4)
	v_fmac_f32_e32 v24, v95, v8
	v_fma_f32 v47, v95, v9, -v47
	v_fmac_f32_e32 v48, v97, v18
	v_fma_f32 v49, v97, v19, -v49
	v_cvt_f64_f32_e32 v[6:7], v41
	v_cvt_f64_f32_e32 v[41:42], v42
	v_cvt_f64_f32_e32 v[43:44], v43
	v_cvt_f64_f32_e32 v[45:46], v45
	v_cvt_f64_f32_e32 v[8:9], v16
	v_cvt_f64_f32_e32 v[16:17], v24
	v_cvt_f64_f32_e32 v[18:19], v47
	v_cvt_f64_f32_e32 v[47:48], v48
	v_cvt_f64_f32_e32 v[49:50], v49
	v_add_co_u32 v24, vcc_lo, s2, v20
	v_mul_f64_e32 v[10:11], s[0:1], v[10:11]
	s_wait_alu 0xfffd
	v_add_co_ci_u32_e32 v51, vcc_lo, s3, v21, vcc_lo
	v_mul_f64_e32 v[20:21], s[0:1], v[31:32]
	v_add_co_u32 v22, vcc_lo, v24, v22
	s_wait_alu 0xfffd
	s_delay_alu instid0(VALU_DEP_3)
	v_add_co_ci_u32_e32 v23, vcc_lo, v51, v23, vcc_lo
	v_mul_f64_e32 v[31:32], s[0:1], v[33:34]
	v_mul_f64_e32 v[33:34], s[0:1], v[35:36]
	;; [unrolled: 1-line block ×3, first 2 shown]
	global_store_b64 v[22:23], v[25:26], off
	v_mul_f64_e32 v[24:25], s[0:1], v[37:38]
	v_mul_f64_e32 v[2:3], s[0:1], v[2:3]
	;; [unrolled: 1-line block ×3, first 2 shown]
	v_cvt_f32_f64_e32 v26, v[27:28]
	v_cvt_f32_f64_e32 v27, v[29:30]
	v_mul_f64_e32 v[28:29], s[0:1], v[39:40]
	v_mul_f64_e32 v[4:5], s[0:1], v[4:5]
	s_mul_u64 s[2:3], s[4:5], 0xea0
	s_wait_alu 0xfffe
	v_add_co_u32 v22, vcc_lo, v22, s2
	s_wait_alu 0xfffd
	v_add_co_ci_u32_e32 v23, vcc_lo, s3, v23, vcc_lo
	v_mul_f64_e32 v[6:7], s[0:1], v[6:7]
	v_mul_f64_e32 v[35:36], s[0:1], v[41:42]
	;; [unrolled: 1-line block ×9, first 2 shown]
	s_movk_i32 s0, 0xf3d0
	s_mov_b32 s1, -1
	v_cvt_f32_f64_e32 v10, v[10:11]
	s_wait_alu 0xfffe
	s_mul_u64 s[0:1], s[4:5], s[0:1]
	v_cvt_f32_f64_e32 v11, v[20:21]
	s_wait_alu 0xfffe
	v_add_co_u32 v20, vcc_lo, v22, s0
	s_wait_alu 0xfffd
	v_add_co_ci_u32_e32 v21, vcc_lo, s1, v23, vcc_lo
	v_cvt_f32_f64_e32 v30, v[31:32]
	v_cvt_f32_f64_e32 v31, v[33:34]
	v_add_co_u32 v32, vcc_lo, v20, s2
	v_cvt_f32_f64_e32 v24, v[24:25]
	v_cvt_f32_f64_e32 v25, v[0:1]
	;; [unrolled: 1-line block ×4, first 2 shown]
	s_wait_alu 0xfffd
	v_add_co_ci_u32_e32 v33, vcc_lo, s3, v21, vcc_lo
	v_cvt_f32_f64_e32 v12, v[14:15]
	v_cvt_f32_f64_e32 v13, v[28:29]
	v_add_co_u32 v2, vcc_lo, v32, s0
	v_cvt_f32_f64_e32 v4, v[4:5]
	s_wait_alu 0xfffd
	v_add_co_ci_u32_e32 v3, vcc_lo, s1, v33, vcc_lo
	global_store_b64 v[22:23], v[26:27], off
	v_cvt_f32_f64_e32 v5, v[6:7]
	v_cvt_f32_f64_e32 v6, v[35:36]
	;; [unrolled: 1-line block ×9, first 2 shown]
	v_add_co_u32 v18, vcc_lo, v2, s2
	s_wait_alu 0xfffd
	v_add_co_ci_u32_e32 v19, vcc_lo, s3, v3, vcc_lo
	s_delay_alu instid0(VALU_DEP_2) | instskip(SKIP_1) | instid1(VALU_DEP_2)
	v_add_co_u32 v22, vcc_lo, v18, s0
	s_wait_alu 0xfffd
	v_add_co_ci_u32_e32 v23, vcc_lo, s1, v19, vcc_lo
	global_store_b64 v[20:21], v[10:11], off
	v_add_co_u32 v10, vcc_lo, v22, s2
	s_wait_alu 0xfffd
	v_add_co_ci_u32_e32 v11, vcc_lo, s3, v23, vcc_lo
	global_store_b64 v[32:33], v[30:31], off
	;; [unrolled: 4-line block ×6, first 2 shown]
	global_store_b64 v[20:21], v[6:7], off
	global_store_b64 v[2:3], v[14:15], off
	;; [unrolled: 1-line block ×4, first 2 shown]
.LBB0_10:
	s_nop 0
	s_sendmsg sendmsg(MSG_DEALLOC_VGPRS)
	s_endpgm
	.section	.rodata,"a",@progbits
	.p2align	6, 0x0
	.amdhsa_kernel bluestein_single_fwd_len936_dim1_sp_op_CI_CI
		.amdhsa_group_segment_fixed_size 22464
		.amdhsa_private_segment_fixed_size 0
		.amdhsa_kernarg_size 104
		.amdhsa_user_sgpr_count 2
		.amdhsa_user_sgpr_dispatch_ptr 0
		.amdhsa_user_sgpr_queue_ptr 0
		.amdhsa_user_sgpr_kernarg_segment_ptr 1
		.amdhsa_user_sgpr_dispatch_id 0
		.amdhsa_user_sgpr_private_segment_size 0
		.amdhsa_wavefront_size32 1
		.amdhsa_uses_dynamic_stack 0
		.amdhsa_enable_private_segment 0
		.amdhsa_system_sgpr_workgroup_id_x 1
		.amdhsa_system_sgpr_workgroup_id_y 0
		.amdhsa_system_sgpr_workgroup_id_z 0
		.amdhsa_system_sgpr_workgroup_info 0
		.amdhsa_system_vgpr_workitem_id 0
		.amdhsa_next_free_vgpr 201
		.amdhsa_next_free_sgpr 20
		.amdhsa_reserve_vcc 1
		.amdhsa_float_round_mode_32 0
		.amdhsa_float_round_mode_16_64 0
		.amdhsa_float_denorm_mode_32 3
		.amdhsa_float_denorm_mode_16_64 3
		.amdhsa_fp16_overflow 0
		.amdhsa_workgroup_processor_mode 1
		.amdhsa_memory_ordered 1
		.amdhsa_forward_progress 0
		.amdhsa_round_robin_scheduling 0
		.amdhsa_exception_fp_ieee_invalid_op 0
		.amdhsa_exception_fp_denorm_src 0
		.amdhsa_exception_fp_ieee_div_zero 0
		.amdhsa_exception_fp_ieee_overflow 0
		.amdhsa_exception_fp_ieee_underflow 0
		.amdhsa_exception_fp_ieee_inexact 0
		.amdhsa_exception_int_div_zero 0
	.end_amdhsa_kernel
	.text
.Lfunc_end0:
	.size	bluestein_single_fwd_len936_dim1_sp_op_CI_CI, .Lfunc_end0-bluestein_single_fwd_len936_dim1_sp_op_CI_CI
                                        ; -- End function
	.section	.AMDGPU.csdata,"",@progbits
; Kernel info:
; codeLenInByte = 16488
; NumSgprs: 22
; NumVgprs: 201
; ScratchSize: 0
; MemoryBound: 0
; FloatMode: 240
; IeeeMode: 1
; LDSByteSize: 22464 bytes/workgroup (compile time only)
; SGPRBlocks: 2
; VGPRBlocks: 25
; NumSGPRsForWavesPerEU: 22
; NumVGPRsForWavesPerEU: 201
; Occupancy: 7
; WaveLimiterHint : 1
; COMPUTE_PGM_RSRC2:SCRATCH_EN: 0
; COMPUTE_PGM_RSRC2:USER_SGPR: 2
; COMPUTE_PGM_RSRC2:TRAP_HANDLER: 0
; COMPUTE_PGM_RSRC2:TGID_X_EN: 1
; COMPUTE_PGM_RSRC2:TGID_Y_EN: 0
; COMPUTE_PGM_RSRC2:TGID_Z_EN: 0
; COMPUTE_PGM_RSRC2:TIDIG_COMP_CNT: 0
	.text
	.p2alignl 7, 3214868480
	.fill 96, 4, 3214868480
	.type	__hip_cuid_b09030827d7b5dee,@object ; @__hip_cuid_b09030827d7b5dee
	.section	.bss,"aw",@nobits
	.globl	__hip_cuid_b09030827d7b5dee
__hip_cuid_b09030827d7b5dee:
	.byte	0                               ; 0x0
	.size	__hip_cuid_b09030827d7b5dee, 1

	.ident	"AMD clang version 19.0.0git (https://github.com/RadeonOpenCompute/llvm-project roc-6.4.0 25133 c7fe45cf4b819c5991fe208aaa96edf142730f1d)"
	.section	".note.GNU-stack","",@progbits
	.addrsig
	.addrsig_sym __hip_cuid_b09030827d7b5dee
	.amdgpu_metadata
---
amdhsa.kernels:
  - .args:
      - .actual_access:  read_only
        .address_space:  global
        .offset:         0
        .size:           8
        .value_kind:     global_buffer
      - .actual_access:  read_only
        .address_space:  global
        .offset:         8
        .size:           8
        .value_kind:     global_buffer
      - .actual_access:  read_only
        .address_space:  global
        .offset:         16
        .size:           8
        .value_kind:     global_buffer
      - .actual_access:  read_only
        .address_space:  global
        .offset:         24
        .size:           8
        .value_kind:     global_buffer
      - .actual_access:  read_only
        .address_space:  global
        .offset:         32
        .size:           8
        .value_kind:     global_buffer
      - .offset:         40
        .size:           8
        .value_kind:     by_value
      - .address_space:  global
        .offset:         48
        .size:           8
        .value_kind:     global_buffer
      - .address_space:  global
        .offset:         56
        .size:           8
        .value_kind:     global_buffer
      - .address_space:  global
        .offset:         64
        .size:           8
        .value_kind:     global_buffer
      - .address_space:  global
        .offset:         72
        .size:           8
        .value_kind:     global_buffer
      - .offset:         80
        .size:           4
        .value_kind:     by_value
      - .address_space:  global
        .offset:         88
        .size:           8
        .value_kind:     global_buffer
      - .address_space:  global
        .offset:         96
        .size:           8
        .value_kind:     global_buffer
    .group_segment_fixed_size: 22464
    .kernarg_segment_align: 8
    .kernarg_segment_size: 104
    .language:       OpenCL C
    .language_version:
      - 2
      - 0
    .max_flat_workgroup_size: 234
    .name:           bluestein_single_fwd_len936_dim1_sp_op_CI_CI
    .private_segment_fixed_size: 0
    .sgpr_count:     22
    .sgpr_spill_count: 0
    .symbol:         bluestein_single_fwd_len936_dim1_sp_op_CI_CI.kd
    .uniform_work_group_size: 1
    .uses_dynamic_stack: false
    .vgpr_count:     201
    .vgpr_spill_count: 0
    .wavefront_size: 32
    .workgroup_processor_mode: 1
amdhsa.target:   amdgcn-amd-amdhsa--gfx1201
amdhsa.version:
  - 1
  - 2
...

	.end_amdgpu_metadata
